;; amdgpu-corpus repo=ROCm/rocFFT kind=compiled arch=gfx1100 opt=O3
	.text
	.amdgcn_target "amdgcn-amd-amdhsa--gfx1100"
	.amdhsa_code_object_version 6
	.protected	fft_rtc_back_len1512_factors_2_2_2_3_3_3_7_wgs_63_tpt_63_halfLds_dp_ip_CI_unitstride_sbrr_C2R_dirReg ; -- Begin function fft_rtc_back_len1512_factors_2_2_2_3_3_3_7_wgs_63_tpt_63_halfLds_dp_ip_CI_unitstride_sbrr_C2R_dirReg
	.globl	fft_rtc_back_len1512_factors_2_2_2_3_3_3_7_wgs_63_tpt_63_halfLds_dp_ip_CI_unitstride_sbrr_C2R_dirReg
	.p2align	8
	.type	fft_rtc_back_len1512_factors_2_2_2_3_3_3_7_wgs_63_tpt_63_halfLds_dp_ip_CI_unitstride_sbrr_C2R_dirReg,@function
fft_rtc_back_len1512_factors_2_2_2_3_3_3_7_wgs_63_tpt_63_halfLds_dp_ip_CI_unitstride_sbrr_C2R_dirReg: ; @fft_rtc_back_len1512_factors_2_2_2_3_3_3_7_wgs_63_tpt_63_halfLds_dp_ip_CI_unitstride_sbrr_C2R_dirReg
; %bb.0:
	s_clause 0x2
	s_load_b128 s[4:7], s[0:1], 0x0
	s_load_b64 s[8:9], s[0:1], 0x50
	s_load_b64 s[10:11], s[0:1], 0x18
	v_mul_u32_u24_e32 v1, 0x411, v0
	v_mov_b32_e32 v3, 0
	v_mov_b32_e32 v4, 0
	s_delay_alu instid0(VALU_DEP_3) | instskip(SKIP_1) | instid1(VALU_DEP_1)
	v_lshrrev_b32_e32 v2, 16, v1
	v_mov_b32_e32 v1, 0
	v_dual_mov_b32 v6, v1 :: v_dual_add_nc_u32 v5, s15, v2
	s_waitcnt lgkmcnt(0)
	v_cmp_lt_u64_e64 s2, s[6:7], 2
	s_delay_alu instid0(VALU_DEP_1)
	s_and_b32 vcc_lo, exec_lo, s2
	s_cbranch_vccnz .LBB0_8
; %bb.1:
	s_load_b64 s[2:3], s[0:1], 0x10
	v_mov_b32_e32 v3, 0
	s_add_u32 s12, s10, 8
	v_mov_b32_e32 v4, 0
	s_addc_u32 s13, s11, 0
	s_mov_b64 s[16:17], 1
	s_waitcnt lgkmcnt(0)
	s_add_u32 s14, s2, 8
	s_addc_u32 s15, s3, 0
.LBB0_2:                                ; =>This Inner Loop Header: Depth=1
	s_load_b64 s[18:19], s[14:15], 0x0
                                        ; implicit-def: $vgpr7_vgpr8
	s_mov_b32 s2, exec_lo
	s_waitcnt lgkmcnt(0)
	v_or_b32_e32 v2, s19, v6
	s_delay_alu instid0(VALU_DEP_1)
	v_cmpx_ne_u64_e32 0, v[1:2]
	s_xor_b32 s3, exec_lo, s2
	s_cbranch_execz .LBB0_4
; %bb.3:                                ;   in Loop: Header=BB0_2 Depth=1
	v_cvt_f32_u32_e32 v2, s18
	v_cvt_f32_u32_e32 v7, s19
	s_sub_u32 s2, 0, s18
	s_subb_u32 s20, 0, s19
	s_delay_alu instid0(VALU_DEP_1) | instskip(NEXT) | instid1(VALU_DEP_1)
	v_fmac_f32_e32 v2, 0x4f800000, v7
	v_rcp_f32_e32 v2, v2
	s_waitcnt_depctr 0xfff
	v_mul_f32_e32 v2, 0x5f7ffffc, v2
	s_delay_alu instid0(VALU_DEP_1) | instskip(NEXT) | instid1(VALU_DEP_1)
	v_mul_f32_e32 v7, 0x2f800000, v2
	v_trunc_f32_e32 v7, v7
	s_delay_alu instid0(VALU_DEP_1) | instskip(SKIP_1) | instid1(VALU_DEP_2)
	v_fmac_f32_e32 v2, 0xcf800000, v7
	v_cvt_u32_f32_e32 v7, v7
	v_cvt_u32_f32_e32 v2, v2
	s_delay_alu instid0(VALU_DEP_2) | instskip(NEXT) | instid1(VALU_DEP_2)
	v_mul_lo_u32 v8, s2, v7
	v_mul_hi_u32 v9, s2, v2
	v_mul_lo_u32 v10, s20, v2
	s_delay_alu instid0(VALU_DEP_2) | instskip(SKIP_1) | instid1(VALU_DEP_2)
	v_add_nc_u32_e32 v8, v9, v8
	v_mul_lo_u32 v9, s2, v2
	v_add_nc_u32_e32 v8, v8, v10
	s_delay_alu instid0(VALU_DEP_2) | instskip(NEXT) | instid1(VALU_DEP_2)
	v_mul_hi_u32 v10, v2, v9
	v_mul_lo_u32 v11, v2, v8
	v_mul_hi_u32 v12, v2, v8
	v_mul_hi_u32 v13, v7, v9
	v_mul_lo_u32 v9, v7, v9
	v_mul_hi_u32 v14, v7, v8
	v_mul_lo_u32 v8, v7, v8
	v_add_co_u32 v10, vcc_lo, v10, v11
	v_add_co_ci_u32_e32 v11, vcc_lo, 0, v12, vcc_lo
	s_delay_alu instid0(VALU_DEP_2) | instskip(NEXT) | instid1(VALU_DEP_2)
	v_add_co_u32 v9, vcc_lo, v10, v9
	v_add_co_ci_u32_e32 v9, vcc_lo, v11, v13, vcc_lo
	v_add_co_ci_u32_e32 v10, vcc_lo, 0, v14, vcc_lo
	s_delay_alu instid0(VALU_DEP_2) | instskip(NEXT) | instid1(VALU_DEP_2)
	v_add_co_u32 v8, vcc_lo, v9, v8
	v_add_co_ci_u32_e32 v9, vcc_lo, 0, v10, vcc_lo
	s_delay_alu instid0(VALU_DEP_2) | instskip(NEXT) | instid1(VALU_DEP_2)
	v_add_co_u32 v2, vcc_lo, v2, v8
	v_add_co_ci_u32_e32 v7, vcc_lo, v7, v9, vcc_lo
	s_delay_alu instid0(VALU_DEP_2) | instskip(SKIP_1) | instid1(VALU_DEP_3)
	v_mul_hi_u32 v8, s2, v2
	v_mul_lo_u32 v10, s20, v2
	v_mul_lo_u32 v9, s2, v7
	s_delay_alu instid0(VALU_DEP_1) | instskip(SKIP_1) | instid1(VALU_DEP_2)
	v_add_nc_u32_e32 v8, v8, v9
	v_mul_lo_u32 v9, s2, v2
	v_add_nc_u32_e32 v8, v8, v10
	s_delay_alu instid0(VALU_DEP_2) | instskip(NEXT) | instid1(VALU_DEP_2)
	v_mul_hi_u32 v10, v2, v9
	v_mul_lo_u32 v11, v2, v8
	v_mul_hi_u32 v12, v2, v8
	v_mul_hi_u32 v13, v7, v9
	v_mul_lo_u32 v9, v7, v9
	v_mul_hi_u32 v14, v7, v8
	v_mul_lo_u32 v8, v7, v8
	v_add_co_u32 v10, vcc_lo, v10, v11
	v_add_co_ci_u32_e32 v11, vcc_lo, 0, v12, vcc_lo
	s_delay_alu instid0(VALU_DEP_2) | instskip(NEXT) | instid1(VALU_DEP_2)
	v_add_co_u32 v9, vcc_lo, v10, v9
	v_add_co_ci_u32_e32 v9, vcc_lo, v11, v13, vcc_lo
	v_add_co_ci_u32_e32 v10, vcc_lo, 0, v14, vcc_lo
	s_delay_alu instid0(VALU_DEP_2) | instskip(NEXT) | instid1(VALU_DEP_2)
	v_add_co_u32 v8, vcc_lo, v9, v8
	v_add_co_ci_u32_e32 v9, vcc_lo, 0, v10, vcc_lo
	s_delay_alu instid0(VALU_DEP_2) | instskip(NEXT) | instid1(VALU_DEP_2)
	v_add_co_u32 v2, vcc_lo, v2, v8
	v_add_co_ci_u32_e32 v13, vcc_lo, v7, v9, vcc_lo
	s_delay_alu instid0(VALU_DEP_2) | instskip(SKIP_1) | instid1(VALU_DEP_3)
	v_mul_hi_u32 v14, v5, v2
	v_mad_u64_u32 v[9:10], null, v6, v2, 0
	v_mad_u64_u32 v[7:8], null, v5, v13, 0
	;; [unrolled: 1-line block ×3, first 2 shown]
	s_delay_alu instid0(VALU_DEP_2) | instskip(NEXT) | instid1(VALU_DEP_3)
	v_add_co_u32 v2, vcc_lo, v14, v7
	v_add_co_ci_u32_e32 v7, vcc_lo, 0, v8, vcc_lo
	s_delay_alu instid0(VALU_DEP_2) | instskip(NEXT) | instid1(VALU_DEP_2)
	v_add_co_u32 v2, vcc_lo, v2, v9
	v_add_co_ci_u32_e32 v2, vcc_lo, v7, v10, vcc_lo
	v_add_co_ci_u32_e32 v7, vcc_lo, 0, v12, vcc_lo
	s_delay_alu instid0(VALU_DEP_2) | instskip(NEXT) | instid1(VALU_DEP_2)
	v_add_co_u32 v2, vcc_lo, v2, v11
	v_add_co_ci_u32_e32 v9, vcc_lo, 0, v7, vcc_lo
	s_delay_alu instid0(VALU_DEP_2) | instskip(SKIP_1) | instid1(VALU_DEP_3)
	v_mul_lo_u32 v10, s19, v2
	v_mad_u64_u32 v[7:8], null, s18, v2, 0
	v_mul_lo_u32 v11, s18, v9
	s_delay_alu instid0(VALU_DEP_2) | instskip(NEXT) | instid1(VALU_DEP_2)
	v_sub_co_u32 v7, vcc_lo, v5, v7
	v_add3_u32 v8, v8, v11, v10
	s_delay_alu instid0(VALU_DEP_1) | instskip(NEXT) | instid1(VALU_DEP_1)
	v_sub_nc_u32_e32 v10, v6, v8
	v_subrev_co_ci_u32_e64 v10, s2, s19, v10, vcc_lo
	v_add_co_u32 v11, s2, v2, 2
	s_delay_alu instid0(VALU_DEP_1) | instskip(SKIP_3) | instid1(VALU_DEP_3)
	v_add_co_ci_u32_e64 v12, s2, 0, v9, s2
	v_sub_co_u32 v13, s2, v7, s18
	v_sub_co_ci_u32_e32 v8, vcc_lo, v6, v8, vcc_lo
	v_subrev_co_ci_u32_e64 v10, s2, 0, v10, s2
	v_cmp_le_u32_e32 vcc_lo, s18, v13
	s_delay_alu instid0(VALU_DEP_3) | instskip(SKIP_1) | instid1(VALU_DEP_4)
	v_cmp_eq_u32_e64 s2, s19, v8
	v_cndmask_b32_e64 v13, 0, -1, vcc_lo
	v_cmp_le_u32_e32 vcc_lo, s19, v10
	v_cndmask_b32_e64 v14, 0, -1, vcc_lo
	v_cmp_le_u32_e32 vcc_lo, s18, v7
	;; [unrolled: 2-line block ×3, first 2 shown]
	v_cndmask_b32_e64 v15, 0, -1, vcc_lo
	v_cmp_eq_u32_e32 vcc_lo, s19, v10
	s_delay_alu instid0(VALU_DEP_2) | instskip(SKIP_3) | instid1(VALU_DEP_3)
	v_cndmask_b32_e64 v7, v15, v7, s2
	v_cndmask_b32_e32 v10, v14, v13, vcc_lo
	v_add_co_u32 v13, vcc_lo, v2, 1
	v_add_co_ci_u32_e32 v14, vcc_lo, 0, v9, vcc_lo
	v_cmp_ne_u32_e32 vcc_lo, 0, v10
	s_delay_alu instid0(VALU_DEP_2) | instskip(NEXT) | instid1(VALU_DEP_4)
	v_cndmask_b32_e32 v8, v14, v12, vcc_lo
	v_cndmask_b32_e32 v10, v13, v11, vcc_lo
	v_cmp_ne_u32_e32 vcc_lo, 0, v7
	s_delay_alu instid0(VALU_DEP_2)
	v_dual_cndmask_b32 v7, v2, v10 :: v_dual_cndmask_b32 v8, v9, v8
.LBB0_4:                                ;   in Loop: Header=BB0_2 Depth=1
	s_and_not1_saveexec_b32 s2, s3
	s_cbranch_execz .LBB0_6
; %bb.5:                                ;   in Loop: Header=BB0_2 Depth=1
	v_cvt_f32_u32_e32 v2, s18
	s_sub_i32 s3, 0, s18
	s_delay_alu instid0(VALU_DEP_1) | instskip(SKIP_2) | instid1(VALU_DEP_1)
	v_rcp_iflag_f32_e32 v2, v2
	s_waitcnt_depctr 0xfff
	v_mul_f32_e32 v2, 0x4f7ffffe, v2
	v_cvt_u32_f32_e32 v2, v2
	s_delay_alu instid0(VALU_DEP_1) | instskip(NEXT) | instid1(VALU_DEP_1)
	v_mul_lo_u32 v7, s3, v2
	v_mul_hi_u32 v7, v2, v7
	s_delay_alu instid0(VALU_DEP_1) | instskip(NEXT) | instid1(VALU_DEP_1)
	v_add_nc_u32_e32 v2, v2, v7
	v_mul_hi_u32 v2, v5, v2
	s_delay_alu instid0(VALU_DEP_1) | instskip(SKIP_1) | instid1(VALU_DEP_2)
	v_mul_lo_u32 v7, v2, s18
	v_add_nc_u32_e32 v8, 1, v2
	v_sub_nc_u32_e32 v7, v5, v7
	s_delay_alu instid0(VALU_DEP_1) | instskip(SKIP_1) | instid1(VALU_DEP_2)
	v_subrev_nc_u32_e32 v9, s18, v7
	v_cmp_le_u32_e32 vcc_lo, s18, v7
	v_dual_cndmask_b32 v7, v7, v9 :: v_dual_cndmask_b32 v2, v2, v8
	s_delay_alu instid0(VALU_DEP_1) | instskip(NEXT) | instid1(VALU_DEP_2)
	v_cmp_le_u32_e32 vcc_lo, s18, v7
	v_add_nc_u32_e32 v8, 1, v2
	s_delay_alu instid0(VALU_DEP_1)
	v_dual_cndmask_b32 v7, v2, v8 :: v_dual_mov_b32 v8, v1
.LBB0_6:                                ;   in Loop: Header=BB0_2 Depth=1
	s_or_b32 exec_lo, exec_lo, s2
	s_load_b64 s[2:3], s[12:13], 0x0
	s_delay_alu instid0(VALU_DEP_1) | instskip(NEXT) | instid1(VALU_DEP_2)
	v_mul_lo_u32 v2, v8, s18
	v_mul_lo_u32 v11, v7, s19
	v_mad_u64_u32 v[9:10], null, v7, s18, 0
	s_add_u32 s16, s16, 1
	s_addc_u32 s17, s17, 0
	s_add_u32 s12, s12, 8
	s_addc_u32 s13, s13, 0
	;; [unrolled: 2-line block ×3, first 2 shown]
	s_delay_alu instid0(VALU_DEP_1) | instskip(SKIP_1) | instid1(VALU_DEP_2)
	v_add3_u32 v2, v10, v11, v2
	v_sub_co_u32 v9, vcc_lo, v5, v9
	v_sub_co_ci_u32_e32 v2, vcc_lo, v6, v2, vcc_lo
	s_waitcnt lgkmcnt(0)
	s_delay_alu instid0(VALU_DEP_2) | instskip(NEXT) | instid1(VALU_DEP_2)
	v_mul_lo_u32 v10, s3, v9
	v_mul_lo_u32 v2, s2, v2
	v_mad_u64_u32 v[5:6], null, s2, v9, v[3:4]
	v_cmp_ge_u64_e64 s2, s[16:17], s[6:7]
	s_delay_alu instid0(VALU_DEP_1) | instskip(NEXT) | instid1(VALU_DEP_2)
	s_and_b32 vcc_lo, exec_lo, s2
	v_add3_u32 v4, v10, v6, v2
	s_delay_alu instid0(VALU_DEP_3)
	v_mov_b32_e32 v3, v5
	s_cbranch_vccnz .LBB0_9
; %bb.7:                                ;   in Loop: Header=BB0_2 Depth=1
	v_dual_mov_b32 v5, v7 :: v_dual_mov_b32 v6, v8
	s_branch .LBB0_2
.LBB0_8:
	v_dual_mov_b32 v8, v6 :: v_dual_mov_b32 v7, v5
.LBB0_9:
	s_lshl_b64 s[2:3], s[6:7], 3
	s_delay_alu instid0(SALU_CYCLE_1)
	s_add_u32 s2, s10, s2
	s_addc_u32 s3, s11, s3
	s_load_b64 s[2:3], s[2:3], 0x0
	s_load_b64 s[0:1], s[0:1], 0x20
	s_waitcnt lgkmcnt(0)
	v_mul_lo_u32 v5, s2, v8
	v_mul_lo_u32 v6, s3, v7
	v_mad_u64_u32 v[1:2], null, s2, v7, v[3:4]
	v_mul_hi_u32 v3, 0x4104105, v0
	v_cmp_gt_u64_e32 vcc_lo, s[0:1], v[7:8]
	s_delay_alu instid0(VALU_DEP_3) | instskip(NEXT) | instid1(VALU_DEP_3)
	v_add3_u32 v2, v6, v2, v5
	v_mul_u32_u24_e32 v3, 63, v3
	s_delay_alu instid0(VALU_DEP_2) | instskip(NEXT) | instid1(VALU_DEP_2)
	v_lshlrev_b64 v[114:115], 4, v[1:2]
	v_sub_nc_u32_e32 v112, v0, v3
	s_and_saveexec_b32 s1, vcc_lo
	s_cbranch_execz .LBB0_13
; %bb.10:
	v_mov_b32_e32 v113, 0
	s_delay_alu instid0(VALU_DEP_3) | instskip(NEXT) | instid1(VALU_DEP_1)
	v_add_co_u32 v0, s0, s8, v114
	v_add_co_ci_u32_e64 v1, s0, s9, v115, s0
	s_delay_alu instid0(VALU_DEP_3) | instskip(SKIP_1) | instid1(VALU_DEP_2)
	v_lshlrev_b64 v[2:3], 4, v[112:113]
	v_lshl_add_u32 v98, v112, 4, 0
	v_add_co_u32 v18, s0, v0, v2
	s_delay_alu instid0(VALU_DEP_1)
	v_add_co_ci_u32_e64 v19, s0, v1, v3, s0
	s_clause 0x3
	global_load_b128 v[2:5], v[18:19], off
	global_load_b128 v[6:9], v[18:19], off offset:1008
	global_load_b128 v[10:13], v[18:19], off offset:2016
	;; [unrolled: 1-line block ×3, first 2 shown]
	v_add_co_u32 v34, s0, 0x1000, v18
	s_delay_alu instid0(VALU_DEP_1) | instskip(SKIP_1) | instid1(VALU_DEP_1)
	v_add_co_ci_u32_e64 v35, s0, 0, v19, s0
	v_add_co_u32 v50, s0, 0x2000, v18
	v_add_co_ci_u32_e64 v51, s0, 0, v19, s0
	v_add_co_u32 v66, s0, 0x3000, v18
	s_delay_alu instid0(VALU_DEP_1) | instskip(SKIP_1) | instid1(VALU_DEP_1)
	v_add_co_ci_u32_e64 v67, s0, 0, v19, s0
	v_add_co_u32 v82, s0, 0x4000, v18
	v_add_co_ci_u32_e64 v83, s0, 0, v19, s0
	v_add_co_u32 v94, s0, 0x5000, v18
	s_delay_alu instid0(VALU_DEP_1)
	v_add_co_ci_u32_e64 v95, s0, 0, v19, s0
	s_clause 0x13
	global_load_b128 v[18:21], v[18:19], off offset:4032
	global_load_b128 v[22:25], v[34:35], off offset:944
	;; [unrolled: 1-line block ×20, first 2 shown]
	v_cmp_eq_u32_e64 s0, 62, v112
	s_waitcnt vmcnt(23)
	ds_store_b128 v98, v[2:5]
	s_waitcnt vmcnt(22)
	ds_store_b128 v98, v[6:9] offset:1008
	s_waitcnt vmcnt(21)
	ds_store_b128 v98, v[10:13] offset:2016
	;; [unrolled: 2-line block ×23, first 2 shown]
	s_and_saveexec_b32 s2, s0
	s_cbranch_execz .LBB0_12
; %bb.11:
	v_add_co_u32 v0, s0, 0x5000, v0
	s_delay_alu instid0(VALU_DEP_1)
	v_add_co_ci_u32_e64 v1, s0, 0, v1, s0
	v_mov_b32_e32 v112, 62
	global_load_b128 v[0:3], v[0:1], off offset:3712
	s_waitcnt vmcnt(0)
	ds_store_b128 v113, v[0:3] offset:24192
.LBB0_12:
	s_or_b32 exec_lo, exec_lo, s2
.LBB0_13:
	s_delay_alu instid0(SALU_CYCLE_1) | instskip(NEXT) | instid1(VALU_DEP_1)
	s_or_b32 exec_lo, exec_lo, s1
	v_lshlrev_b32_e32 v0, 4, v112
	s_waitcnt lgkmcnt(0)
	s_barrier
	buffer_gl0_inv
	s_add_u32 s1, s4, 0x5e60
	v_add_nc_u32_e32 v118, 0, v0
	v_sub_nc_u32_e32 v10, 0, v0
	s_addc_u32 s2, s5, 0
	s_mov_b32 s3, exec_lo
                                        ; implicit-def: $vgpr4_vgpr5
	ds_load_b64 v[6:7], v118
	ds_load_b64 v[8:9], v10 offset:24192
	s_waitcnt lgkmcnt(0)
	v_add_f64 v[0:1], v[6:7], v[8:9]
	v_add_f64 v[2:3], v[6:7], -v[8:9]
	v_cmpx_ne_u32_e32 0, v112
	s_xor_b32 s3, exec_lo, s3
	s_cbranch_execz .LBB0_15
; %bb.14:
	v_mov_b32_e32 v113, 0
	v_add_f64 v[13:14], v[6:7], v[8:9]
	v_add_f64 v[15:16], v[6:7], -v[8:9]
	s_delay_alu instid0(VALU_DEP_3) | instskip(NEXT) | instid1(VALU_DEP_1)
	v_lshlrev_b64 v[0:1], 4, v[112:113]
	v_add_co_u32 v0, s0, s1, v0
	s_delay_alu instid0(VALU_DEP_1)
	v_add_co_ci_u32_e64 v1, s0, s2, v1, s0
	global_load_b128 v[2:5], v[0:1], off
	ds_load_b64 v[0:1], v10 offset:24200
	ds_load_b64 v[11:12], v118 offset:8
	s_waitcnt lgkmcnt(0)
	v_add_f64 v[6:7], v[0:1], v[11:12]
	v_add_f64 v[0:1], v[11:12], -v[0:1]
	s_waitcnt vmcnt(0)
	v_fma_f64 v[8:9], v[15:16], v[4:5], v[13:14]
	v_fma_f64 v[11:12], -v[15:16], v[4:5], v[13:14]
	s_delay_alu instid0(VALU_DEP_3) | instskip(SKIP_1) | instid1(VALU_DEP_4)
	v_fma_f64 v[13:14], v[6:7], v[4:5], -v[0:1]
	v_fma_f64 v[4:5], v[6:7], v[4:5], v[0:1]
	v_fma_f64 v[0:1], -v[6:7], v[2:3], v[8:9]
	s_delay_alu instid0(VALU_DEP_4) | instskip(NEXT) | instid1(VALU_DEP_4)
	v_fma_f64 v[6:7], v[6:7], v[2:3], v[11:12]
	v_fma_f64 v[8:9], v[15:16], v[2:3], v[13:14]
	s_delay_alu instid0(VALU_DEP_4)
	v_fma_f64 v[2:3], v[15:16], v[2:3], v[4:5]
	v_dual_mov_b32 v4, v112 :: v_dual_mov_b32 v5, v113
	ds_store_b128 v10, v[6:9] offset:24192
.LBB0_15:
	s_and_not1_saveexec_b32 s0, s3
	s_cbranch_execz .LBB0_17
; %bb.16:
	v_mov_b32_e32 v8, 0
	ds_load_b128 v[4:7], v8 offset:12096
	s_waitcnt lgkmcnt(0)
	v_add_f64 v[11:12], v[4:5], v[4:5]
	v_mul_f64 v[13:14], v[6:7], -2.0
	v_mov_b32_e32 v4, 0
	v_mov_b32_e32 v5, 0
	ds_store_b128 v8, v[11:14] offset:12096
.LBB0_17:
	s_or_b32 exec_lo, exec_lo, s0
	v_lshlrev_b64 v[4:5], 4, v[4:5]
	v_add_nc_u32_e32 v113, 0xbd, v112
	v_and_b32_e32 v106, 1, v112
	v_add_nc_u32_e32 v101, 63, v112
	v_add_nc_u32_e32 v97, 0x7e, v112
	v_lshl_add_u32 v107, v112, 5, 0
	v_add_co_u32 v4, s0, s1, v4
	s_delay_alu instid0(VALU_DEP_1)
	v_add_co_ci_u32_e64 v5, s0, s2, v5, s0
	v_add_nc_u32_e32 v96, 0xfc, v112
	v_add_nc_u32_e32 v100, 0x13b, v112
	;; [unrolled: 1-line block ×3, first 2 shown]
	s_clause 0x1
	global_load_b128 v[6:9], v[4:5], off offset:1008
	global_load_b128 v[11:14], v[4:5], off offset:2016
	ds_store_b128 v118, v[0:3]
	ds_load_b128 v[0:3], v118 offset:1008
	ds_load_b128 v[15:18], v10 offset:23184
	global_load_b128 v[19:22], v[4:5], off offset:3024
	v_add_nc_u32_e32 v98, 0x1b9, v112
	v_lshl_add_u32 v116, v101, 5, 0
	v_lshl_add_u32 v117, v97, 5, 0
	s_mov_b32 s2, 0xe8584caa
	s_mov_b32 s3, 0xbfebb67a
	;; [unrolled: 1-line block ×4, first 2 shown]
	s_waitcnt lgkmcnt(0)
	v_add_f64 v[23:24], v[0:1], v[15:16]
	v_add_f64 v[25:26], v[17:18], v[2:3]
	v_add_f64 v[27:28], v[0:1], -v[15:16]
	v_add_f64 v[0:1], v[2:3], -v[17:18]
	s_waitcnt vmcnt(2)
	s_delay_alu instid0(VALU_DEP_2) | instskip(NEXT) | instid1(VALU_DEP_2)
	v_fma_f64 v[2:3], v[27:28], v[8:9], v[23:24]
	v_fma_f64 v[15:16], v[25:26], v[8:9], v[0:1]
	v_fma_f64 v[17:18], -v[27:28], v[8:9], v[23:24]
	v_fma_f64 v[8:9], v[25:26], v[8:9], -v[0:1]
	s_delay_alu instid0(VALU_DEP_4) | instskip(NEXT) | instid1(VALU_DEP_4)
	v_fma_f64 v[0:1], -v[25:26], v[6:7], v[2:3]
	v_fma_f64 v[2:3], v[27:28], v[6:7], v[15:16]
	s_delay_alu instid0(VALU_DEP_4) | instskip(NEXT) | instid1(VALU_DEP_4)
	v_fma_f64 v[15:16], v[25:26], v[6:7], v[17:18]
	v_fma_f64 v[17:18], v[27:28], v[6:7], v[8:9]
	ds_store_b128 v118, v[0:3] offset:1008
	ds_store_b128 v10, v[15:18] offset:23184
	ds_load_b128 v[0:3], v118 offset:2016
	ds_load_b128 v[6:9], v10 offset:22176
	global_load_b128 v[15:18], v[4:5], off offset:4032
	s_waitcnt lgkmcnt(0)
	v_add_f64 v[23:24], v[0:1], v[6:7]
	v_add_f64 v[25:26], v[8:9], v[2:3]
	v_add_f64 v[27:28], v[0:1], -v[6:7]
	v_add_f64 v[0:1], v[2:3], -v[8:9]
	s_waitcnt vmcnt(2)
	s_delay_alu instid0(VALU_DEP_2) | instskip(NEXT) | instid1(VALU_DEP_2)
	v_fma_f64 v[2:3], v[27:28], v[13:14], v[23:24]
	v_fma_f64 v[6:7], v[25:26], v[13:14], v[0:1]
	v_fma_f64 v[8:9], -v[27:28], v[13:14], v[23:24]
	v_fma_f64 v[13:14], v[25:26], v[13:14], -v[0:1]
	v_add_co_u32 v23, s0, 0x1000, v4
	s_delay_alu instid0(VALU_DEP_1)
	v_add_co_ci_u32_e64 v24, s0, 0, v5, s0
	v_fma_f64 v[0:1], -v[25:26], v[11:12], v[2:3]
	v_fma_f64 v[2:3], v[27:28], v[11:12], v[6:7]
	v_fma_f64 v[6:7], v[25:26], v[11:12], v[8:9]
	;; [unrolled: 1-line block ×3, first 2 shown]
	ds_store_b128 v118, v[0:3] offset:2016
	ds_store_b128 v10, v[6:9] offset:22176
	ds_load_b128 v[0:3], v118 offset:3024
	ds_load_b128 v[6:9], v10 offset:21168
	global_load_b128 v[11:14], v[23:24], off offset:944
	s_waitcnt lgkmcnt(0)
	v_add_f64 v[25:26], v[0:1], v[6:7]
	v_add_f64 v[27:28], v[8:9], v[2:3]
	v_add_f64 v[29:30], v[0:1], -v[6:7]
	v_add_f64 v[0:1], v[2:3], -v[8:9]
	s_waitcnt vmcnt(2)
	s_delay_alu instid0(VALU_DEP_2) | instskip(NEXT) | instid1(VALU_DEP_2)
	v_fma_f64 v[2:3], v[29:30], v[21:22], v[25:26]
	v_fma_f64 v[6:7], v[27:28], v[21:22], v[0:1]
	v_fma_f64 v[8:9], -v[29:30], v[21:22], v[25:26]
	v_fma_f64 v[21:22], v[27:28], v[21:22], -v[0:1]
	s_delay_alu instid0(VALU_DEP_4) | instskip(NEXT) | instid1(VALU_DEP_4)
	v_fma_f64 v[0:1], -v[27:28], v[19:20], v[2:3]
	v_fma_f64 v[2:3], v[29:30], v[19:20], v[6:7]
	s_delay_alu instid0(VALU_DEP_4) | instskip(NEXT) | instid1(VALU_DEP_4)
	v_fma_f64 v[6:7], v[27:28], v[19:20], v[8:9]
	v_fma_f64 v[8:9], v[29:30], v[19:20], v[21:22]
	ds_store_b128 v118, v[0:3] offset:3024
	ds_store_b128 v10, v[6:9] offset:21168
	ds_load_b128 v[0:3], v118 offset:4032
	ds_load_b128 v[6:9], v10 offset:20160
	global_load_b128 v[19:22], v[23:24], off offset:1952
	s_waitcnt lgkmcnt(0)
	v_add_f64 v[25:26], v[0:1], v[6:7]
	v_add_f64 v[27:28], v[8:9], v[2:3]
	v_add_f64 v[29:30], v[0:1], -v[6:7]
	v_add_f64 v[0:1], v[2:3], -v[8:9]
	s_waitcnt vmcnt(2)
	s_delay_alu instid0(VALU_DEP_2) | instskip(NEXT) | instid1(VALU_DEP_2)
	v_fma_f64 v[2:3], v[29:30], v[17:18], v[25:26]
	v_fma_f64 v[6:7], v[27:28], v[17:18], v[0:1]
	v_fma_f64 v[8:9], -v[29:30], v[17:18], v[25:26]
	v_fma_f64 v[17:18], v[27:28], v[17:18], -v[0:1]
	s_delay_alu instid0(VALU_DEP_4) | instskip(NEXT) | instid1(VALU_DEP_4)
	v_fma_f64 v[0:1], -v[27:28], v[15:16], v[2:3]
	v_fma_f64 v[2:3], v[29:30], v[15:16], v[6:7]
	s_delay_alu instid0(VALU_DEP_4) | instskip(NEXT) | instid1(VALU_DEP_4)
	v_fma_f64 v[6:7], v[27:28], v[15:16], v[8:9]
	v_fma_f64 v[8:9], v[29:30], v[15:16], v[17:18]
	;; [unrolled: 22-line block ×3, first 2 shown]
	ds_store_b128 v118, v[0:3] offset:5040
	ds_store_b128 v10, v[6:9] offset:19152
	ds_load_b128 v[0:3], v118 offset:6048
	ds_load_b128 v[6:9], v10 offset:18144
	global_load_b128 v[11:14], v[23:24], off offset:3968
	s_waitcnt lgkmcnt(0)
	v_add_f64 v[23:24], v[0:1], v[6:7]
	v_add_f64 v[25:26], v[8:9], v[2:3]
	v_add_f64 v[27:28], v[0:1], -v[6:7]
	v_add_f64 v[0:1], v[2:3], -v[8:9]
	s_waitcnt vmcnt(2)
	s_delay_alu instid0(VALU_DEP_2) | instskip(NEXT) | instid1(VALU_DEP_2)
	v_fma_f64 v[2:3], v[27:28], v[21:22], v[23:24]
	v_fma_f64 v[6:7], v[25:26], v[21:22], v[0:1]
	v_fma_f64 v[8:9], -v[27:28], v[21:22], v[23:24]
	v_fma_f64 v[21:22], v[25:26], v[21:22], -v[0:1]
	v_add_co_u32 v23, s0, 0x2000, v4
	s_delay_alu instid0(VALU_DEP_1)
	v_add_co_ci_u32_e64 v24, s0, 0, v5, s0
	v_cmp_gt_u32_e64 s0, 9, v112
	v_fma_f64 v[0:1], -v[25:26], v[19:20], v[2:3]
	v_fma_f64 v[2:3], v[27:28], v[19:20], v[6:7]
	v_fma_f64 v[6:7], v[25:26], v[19:20], v[8:9]
	;; [unrolled: 1-line block ×3, first 2 shown]
	ds_store_b128 v118, v[0:3] offset:6048
	ds_store_b128 v10, v[6:9] offset:18144
	ds_load_b128 v[0:3], v118 offset:7056
	ds_load_b128 v[6:9], v10 offset:17136
	global_load_b128 v[19:22], v[23:24], off offset:880
	s_waitcnt lgkmcnt(0)
	v_add_f64 v[4:5], v[0:1], v[6:7]
	v_add_f64 v[25:26], v[8:9], v[2:3]
	v_add_f64 v[6:7], v[0:1], -v[6:7]
	v_add_f64 v[0:1], v[2:3], -v[8:9]
	s_waitcnt vmcnt(2)
	s_delay_alu instid0(VALU_DEP_2) | instskip(NEXT) | instid1(VALU_DEP_2)
	v_fma_f64 v[2:3], v[6:7], v[17:18], v[4:5]
	v_fma_f64 v[8:9], v[25:26], v[17:18], v[0:1]
	v_fma_f64 v[4:5], -v[6:7], v[17:18], v[4:5]
	v_fma_f64 v[17:18], v[25:26], v[17:18], -v[0:1]
	s_delay_alu instid0(VALU_DEP_4) | instskip(NEXT) | instid1(VALU_DEP_4)
	v_fma_f64 v[0:1], -v[25:26], v[15:16], v[2:3]
	v_fma_f64 v[2:3], v[6:7], v[15:16], v[8:9]
	s_delay_alu instid0(VALU_DEP_4) | instskip(NEXT) | instid1(VALU_DEP_4)
	v_fma_f64 v[4:5], v[25:26], v[15:16], v[4:5]
	v_fma_f64 v[6:7], v[6:7], v[15:16], v[17:18]
	ds_store_b128 v118, v[0:3] offset:7056
	ds_store_b128 v10, v[4:7] offset:17136
	ds_load_b128 v[0:3], v118 offset:8064
	ds_load_b128 v[4:7], v10 offset:16128
	global_load_b128 v[15:18], v[23:24], off offset:1888
	s_waitcnt lgkmcnt(0)
	v_add_f64 v[8:9], v[0:1], v[4:5]
	v_add_f64 v[25:26], v[6:7], v[2:3]
	v_add_f64 v[27:28], v[0:1], -v[4:5]
	v_add_f64 v[0:1], v[2:3], -v[6:7]
	s_waitcnt vmcnt(2)
	s_delay_alu instid0(VALU_DEP_2) | instskip(NEXT) | instid1(VALU_DEP_2)
	v_fma_f64 v[2:3], v[27:28], v[13:14], v[8:9]
	v_fma_f64 v[4:5], v[25:26], v[13:14], v[0:1]
	v_fma_f64 v[6:7], -v[27:28], v[13:14], v[8:9]
	v_fma_f64 v[8:9], v[25:26], v[13:14], -v[0:1]
	s_delay_alu instid0(VALU_DEP_4) | instskip(NEXT) | instid1(VALU_DEP_4)
	v_fma_f64 v[0:1], -v[25:26], v[11:12], v[2:3]
	v_fma_f64 v[2:3], v[27:28], v[11:12], v[4:5]
	s_delay_alu instid0(VALU_DEP_4) | instskip(NEXT) | instid1(VALU_DEP_4)
	v_fma_f64 v[4:5], v[25:26], v[11:12], v[6:7]
	v_fma_f64 v[6:7], v[27:28], v[11:12], v[8:9]
	;; [unrolled: 22-line block ×3, first 2 shown]
	ds_store_b128 v118, v[0:3] offset:9072
	ds_store_b128 v10, v[4:7] offset:15120
	ds_load_b128 v[0:3], v118 offset:10080
	ds_load_b128 v[4:7], v10 offset:14112
	s_waitcnt lgkmcnt(0)
	v_add_f64 v[8:9], v[0:1], v[4:5]
	v_add_f64 v[19:20], v[6:7], v[2:3]
	v_add_f64 v[21:22], v[0:1], -v[4:5]
	v_add_f64 v[0:1], v[2:3], -v[6:7]
	s_waitcnt vmcnt(1)
	s_delay_alu instid0(VALU_DEP_2) | instskip(NEXT) | instid1(VALU_DEP_2)
	v_fma_f64 v[2:3], v[21:22], v[17:18], v[8:9]
	v_fma_f64 v[4:5], v[19:20], v[17:18], v[0:1]
	v_fma_f64 v[6:7], -v[21:22], v[17:18], v[8:9]
	v_fma_f64 v[8:9], v[19:20], v[17:18], -v[0:1]
	s_delay_alu instid0(VALU_DEP_4) | instskip(NEXT) | instid1(VALU_DEP_4)
	v_fma_f64 v[0:1], -v[19:20], v[15:16], v[2:3]
	v_fma_f64 v[2:3], v[21:22], v[15:16], v[4:5]
	s_delay_alu instid0(VALU_DEP_4) | instskip(NEXT) | instid1(VALU_DEP_4)
	v_fma_f64 v[4:5], v[19:20], v[15:16], v[6:7]
	v_fma_f64 v[6:7], v[21:22], v[15:16], v[8:9]
	ds_store_b128 v118, v[0:3] offset:10080
	ds_store_b128 v10, v[4:7] offset:14112
	ds_load_b128 v[0:3], v118 offset:11088
	ds_load_b128 v[4:7], v10 offset:13104
	s_waitcnt lgkmcnt(0)
	v_add_f64 v[8:9], v[0:1], v[4:5]
	v_add_f64 v[15:16], v[6:7], v[2:3]
	v_add_f64 v[17:18], v[0:1], -v[4:5]
	v_add_f64 v[0:1], v[2:3], -v[6:7]
	s_waitcnt vmcnt(0)
	s_delay_alu instid0(VALU_DEP_2) | instskip(NEXT) | instid1(VALU_DEP_2)
	v_fma_f64 v[2:3], v[17:18], v[13:14], v[8:9]
	v_fma_f64 v[4:5], v[15:16], v[13:14], v[0:1]
	v_fma_f64 v[6:7], -v[17:18], v[13:14], v[8:9]
	v_fma_f64 v[8:9], v[15:16], v[13:14], -v[0:1]
	s_delay_alu instid0(VALU_DEP_4) | instskip(NEXT) | instid1(VALU_DEP_4)
	v_fma_f64 v[0:1], -v[15:16], v[11:12], v[2:3]
	v_fma_f64 v[2:3], v[17:18], v[11:12], v[4:5]
	s_delay_alu instid0(VALU_DEP_4) | instskip(NEXT) | instid1(VALU_DEP_4)
	v_fma_f64 v[4:5], v[15:16], v[11:12], v[6:7]
	v_fma_f64 v[6:7], v[17:18], v[11:12], v[8:9]
	ds_store_b128 v118, v[0:3] offset:11088
	ds_store_b128 v10, v[4:7] offset:13104
	s_waitcnt lgkmcnt(0)
	s_barrier
	buffer_gl0_inv
	s_barrier
	buffer_gl0_inv
	ds_load_b128 v[72:75], v118
	ds_load_b128 v[48:51], v118 offset:1008
	ds_load_b128 v[0:3], v118 offset:12096
	;; [unrolled: 1-line block ×23, first 2 shown]
	s_waitcnt lgkmcnt(21)
	v_add_f64 v[44:45], v[72:73], -v[0:1]
	v_add_f64 v[46:47], v[74:75], -v[2:3]
	s_waitcnt lgkmcnt(20)
	v_add_f64 v[40:41], v[48:49], -v[4:5]
	v_add_f64 v[42:43], v[50:51], -v[6:7]
	;; [unrolled: 3-line block ×12, first 2 shown]
	v_add_nc_u32_e32 v102, 0x2b5, v112
	v_add_nc_u32_e32 v105, 0x1f8, v112
	;; [unrolled: 1-line block ×4, first 2 shown]
	v_lshlrev_b32_e32 v128, 4, v106
	v_lshl_add_u32 v119, v113, 5, 0
	v_lshl_add_u32 v120, v96, 5, 0
	;; [unrolled: 1-line block ×9, first 2 shown]
	v_fma_f64 v[72:73], v[72:73], 2.0, -v[44:45]
	v_fma_f64 v[74:75], v[74:75], 2.0, -v[46:47]
	v_fma_f64 v[48:49], v[48:49], 2.0, -v[40:41]
	v_fma_f64 v[50:51], v[50:51], 2.0, -v[42:43]
	v_fma_f64 v[76:77], v[76:77], 2.0, -v[36:37]
	v_fma_f64 v[78:79], v[78:79], 2.0, -v[38:39]
	v_fma_f64 v[52:53], v[52:53], 2.0, -v[32:33]
	v_fma_f64 v[54:55], v[54:55], 2.0, -v[34:35]
	v_fma_f64 v[80:81], v[80:81], 2.0, -v[28:29]
	v_fma_f64 v[82:83], v[82:83], 2.0, -v[30:31]
	v_fma_f64 v[56:57], v[56:57], 2.0, -v[24:25]
	v_fma_f64 v[58:59], v[58:59], 2.0, -v[26:27]
	v_fma_f64 v[84:85], v[84:85], 2.0, -v[20:21]
	v_fma_f64 v[86:87], v[86:87], 2.0, -v[22:23]
	v_fma_f64 v[108:109], v[60:61], 2.0, -v[16:17]
	v_fma_f64 v[110:111], v[62:63], 2.0, -v[18:19]
	v_fma_f64 v[88:89], v[88:89], 2.0, -v[12:13]
	v_fma_f64 v[90:91], v[90:91], 2.0, -v[14:15]
	v_fma_f64 v[64:65], v[64:65], 2.0, -v[8:9]
	v_fma_f64 v[66:67], v[66:67], 2.0, -v[10:11]
	v_fma_f64 v[92:93], v[92:93], 2.0, -v[4:5]
	v_fma_f64 v[94:95], v[94:95], 2.0, -v[6:7]
	v_fma_f64 v[68:69], v[68:69], 2.0, -v[0:1]
	v_fma_f64 v[70:71], v[70:71], 2.0, -v[2:3]
	v_and_b32_e32 v62, 1, v113
	v_and_b32_e32 v60, 1, v102
	;; [unrolled: 1-line block ×3, first 2 shown]
	s_barrier
	s_delay_alu instid0(VALU_DEP_3) | instskip(NEXT) | instid1(VALU_DEP_3)
	v_lshlrev_b32_e32 v129, 4, v62
	v_lshlrev_b32_e32 v130, 4, v60
	buffer_gl0_inv
	ds_store_b128 v107, v[72:75]
	ds_store_b128 v107, v[44:47] offset:16
	ds_store_b128 v116, v[48:51]
	ds_store_b128 v116, v[40:43] offset:16
	;; [unrolled: 2-line block ×12, first 2 shown]
	s_waitcnt lgkmcnt(0)
	s_barrier
	buffer_gl0_inv
	s_clause 0x2
	global_load_b128 v[12:15], v129, s[4:5]
	global_load_b128 v[4:7], v128, s[4:5]
	;; [unrolled: 1-line block ×3, first 2 shown]
	v_lshlrev_b32_e32 v8, 4, v61
	v_and_b32_e32 v63, 1, v98
	v_and_b32_e32 v64, 1, v104
	;; [unrolled: 1-line block ×3, first 2 shown]
	v_lshlrev_b32_e32 v71, 1, v105
	global_load_b128 v[20:23], v8, s[4:5]
	v_lshlrev_b32_e32 v9, 4, v63
	v_lshlrev_b32_e32 v8, 4, v64
	s_clause 0x2
	global_load_b128 v[16:19], v9, s[4:5]
	global_load_b128 v[8:11], v8, s[4:5]
	global_load_b64 v[58:59], v130, s[4:5] offset:8
	v_lshlrev_b32_e32 v24, 4, v66
	v_lshlrev_b32_e32 v72, 1, v104
	;; [unrolled: 1-line block ×5, first 2 shown]
	global_load_b64 v[56:57], v24, s[4:5]
	ds_load_b128 v[24:27], v118 offset:15120
	ds_load_b128 v[28:31], v118 offset:12096
	;; [unrolled: 1-line block ×12, first 2 shown]
	ds_load_b128 v[107:110], v118
	ds_load_b128 v[119:122], v118 offset:1008
	v_lshlrev_b32_e32 v76, 1, v98
	v_lshlrev_b32_e32 v116, 1, v112
	;; [unrolled: 1-line block ×5, first 2 shown]
	v_and_b32_e32 v77, 3, v100
	v_and_or_b32 v68, 0x7c, v116, v106
	v_and_b32_e32 v65, 3, v112
	v_and_or_b32 v64, 0x4fc, v72, v64
	v_and_or_b32 v66, 0xfc, v67, v66
	s_delay_alu instid0(VALU_DEP_4) | instskip(NEXT) | instid1(VALU_DEP_4)
	v_lshl_add_u32 v68, v68, 4, 0
	v_lshlrev_b32_e32 v111, 4, v65
	s_delay_alu instid0(VALU_DEP_4)
	v_lshl_add_u32 v64, v64, 4, 0
	s_waitcnt vmcnt(7) lgkmcnt(13)
	v_mul_f64 v[94:95], v[26:27], v[14:15]
	s_waitcnt vmcnt(6) lgkmcnt(12)
	v_mul_f64 v[123:124], v[30:31], v[6:7]
	v_mul_f64 v[125:126], v[28:29], v[6:7]
	s_waitcnt vmcnt(5) lgkmcnt(11)
	v_mul_f64 v[127:128], v[46:47], v[2:3]
	v_mul_f64 v[2:3], v[44:45], v[2:3]
	s_waitcnt lgkmcnt(10)
	v_mul_f64 v[129:130], v[42:43], v[6:7]
	v_mul_f64 v[131:132], v[40:41], v[6:7]
	;; [unrolled: 1-line block ×3, first 2 shown]
	s_waitcnt lgkmcnt(8)
	v_mul_f64 v[135:136], v[38:39], v[6:7]
	v_mul_f64 v[137:138], v[36:37], v[6:7]
	s_waitcnt vmcnt(4)
	v_mul_f64 v[133:134], v[34:35], v[22:23]
	v_mul_f64 v[22:23], v[32:33], v[22:23]
	s_waitcnt lgkmcnt(6)
	v_mul_f64 v[141:142], v[54:55], v[6:7]
	v_mul_f64 v[143:144], v[52:53], v[6:7]
	s_waitcnt vmcnt(3)
	v_mul_f64 v[139:140], v[50:51], v[18:19]
	v_mul_f64 v[18:19], v[48:49], v[18:19]
	;; [unrolled: 6-line block ×3, first 2 shown]
	s_waitcnt lgkmcnt(3)
	v_mul_f64 v[151:152], v[88:89], v[6:7]
	v_mul_f64 v[6:7], v[86:87], v[6:7]
	s_waitcnt vmcnt(1) lgkmcnt(2)
	v_mul_f64 v[153:154], v[92:93], v[58:59]
	v_mul_f64 v[155:156], v[90:91], v[58:59]
	v_lshlrev_b32_e32 v58, 1, v102
	v_lshlrev_b32_e32 v59, 1, v96
	s_delay_alu instid0(VALU_DEP_1)
	v_and_or_b32 v117, 0x3fc, v59, v106
	v_fma_f64 v[94:95], v[24:25], v[12:13], v[94:95]
	v_fma_f64 v[123:124], v[28:29], v[4:5], v[123:124]
	v_fma_f64 v[125:126], v[30:31], v[4:5], -v[125:126]
	s_waitcnt vmcnt(0)
	v_fma_f64 v[127:128], v[44:45], v[56:57], v[127:128]
	v_fma_f64 v[157:158], v[46:47], v[56:57], -v[2:3]
	v_fma_f64 v[129:130], v[40:41], v[4:5], v[129:130]
	v_fma_f64 v[131:132], v[42:43], v[4:5], -v[131:132]
	v_fma_f64 v[159:160], v[26:27], v[12:13], -v[14:15]
	v_fma_f64 v[135:136], v[36:37], v[4:5], v[135:136]
	v_fma_f64 v[137:138], v[38:39], v[4:5], -v[137:138]
	v_fma_f64 v[133:134], v[32:33], v[20:21], v[133:134]
	;; [unrolled: 2-line block ×8, first 2 shown]
	ds_load_b128 v[2:5], v118 offset:2016
	ds_load_b128 v[6:9], v118 offset:3024
	v_fma_f64 v[0:1], v[92:93], v[0:1], -v[155:156]
	ds_load_b128 v[10:13], v118 offset:4032
	ds_load_b128 v[14:17], v118 offset:5040
	;; [unrolled: 1-line block ×8, first 2 shown]
	v_and_b32_e32 v55, 3, v104
	v_and_b32_e32 v56, 3, v103
	;; [unrolled: 1-line block ×3, first 2 shown]
	s_waitcnt lgkmcnt(0)
	s_barrier
	buffer_gl0_inv
	v_and_b32_e32 v54, 3, v99
	v_add_f64 v[42:43], v[107:108], -v[123:124]
	v_add_f64 v[44:45], v[109:110], -v[125:126]
	;; [unrolled: 1-line block ×23, first 2 shown]
	v_and_or_b32 v95, 0x1fc, v70, v62
	v_add_f64 v[137:138], v[40:41], -v[0:1]
	v_and_or_b32 v139, 0x2fc, v74, v61
	v_and_or_b32 v141, 0x3fc, v76, v63
	;; [unrolled: 1-line block ×7, first 2 shown]
	v_lshlrev_b32_e32 v145, 4, v77
	v_lshlrev_b32_e32 v146, 4, v55
	v_and_or_b32 v55, 0x4f8, v72, v55
	v_fma_f64 v[60:61], v[107:108], 2.0, -v[42:43]
	v_fma_f64 v[62:63], v[109:110], 2.0, -v[44:45]
	;; [unrolled: 1-line block ×23, first 2 shown]
	v_lshl_add_u32 v110, v139, 4, 0
	v_fma_f64 v[38:39], v[40:41], 2.0, -v[137:138]
	v_lshl_add_u32 v41, v66, 4, 0
	v_lshlrev_b32_e32 v40, 4, v56
	v_lshl_add_u32 v66, v94, 4, 0
	v_lshl_add_u32 v94, v95, 4, 0
	;; [unrolled: 1-line block ×8, first 2 shown]
	ds_store_b128 v68, v[60:63]
	ds_store_b128 v68, v[42:45] offset:32
	ds_store_b128 v41, v[106:109]
	ds_store_b128 v41, v[46:49] offset:32
	;; [unrolled: 2-line block ×12, first 2 shown]
	s_waitcnt lgkmcnt(0)
	s_barrier
	buffer_gl0_inv
	s_clause 0x1
	global_load_b128 v[10:13], v145, s[4:5] offset:32
	global_load_b128 v[22:25], v111, s[4:5] offset:32
	v_lshlrev_b32_e32 v4, 4, v57
	s_clause 0x1
	global_load_b128 v[26:29], v146, s[4:5] offset:32
	global_load_b128 v[30:33], v40, s[4:5] offset:32
	v_and_b32_e32 v60, 3, v98
	v_lshlrev_b32_e32 v0, 4, v54
	global_load_b128 v[78:81], v4, s[4:5] offset:32
	v_and_b32_e32 v61, 3, v101
	v_and_b32_e32 v62, 3, v97
	v_lshlrev_b32_e32 v1, 4, v60
	s_clause 0x4
	global_load_b128 v[14:17], v0, s[4:5] offset:32
	global_load_b128 v[18:21], v1, s[4:5] offset:32
	global_load_b64 v[0:1], v146, s[4:5] offset:40
	global_load_b64 v[2:3], v40, s[4:5] offset:40
	;; [unrolled: 1-line block ×3, first 2 shown]
	v_and_b32_e32 v63, 3, v113
	v_lshlrev_b32_e32 v6, 4, v61
	v_lshlrev_b32_e32 v7, 4, v62
	v_and_or_b32 v64, 0x78, v116, v65
	v_and_or_b32 v67, 0xf8, v67, v61
	v_lshlrev_b32_e32 v8, 4, v63
	s_clause 0x2
	global_load_b64 v[94:95], v6, s[4:5] offset:32
	global_load_b64 v[110:111], v7, s[4:5] offset:32
	;; [unrolled: 1-line block ×3, first 2 shown]
	ds_load_b128 v[82:85], v118 offset:17136
	ds_load_b128 v[34:37], v118 offset:12096
	;; [unrolled: 1-line block ×12, first 2 shown]
	v_and_or_b32 v117, 0x2f8, v74, v77
	v_and_or_b32 v54, 0x3f8, v75, v54
	;; [unrolled: 1-line block ×3, first 2 shown]
	v_and_b32_e32 v68, 7, v112
	v_and_or_b32 v57, 0x5f8, v58, v57
	v_lshl_add_u32 v58, v67, 4, 0
	v_lshl_add_u32 v54, v54, 4, 0
	v_lshl_add_u32 v55, v55, 4, 0
	v_lshl_add_u32 v56, v56, 4, 0
	v_lshl_add_u32 v57, v57, 4, 0
	s_waitcnt vmcnt(12) lgkmcnt(11)
	v_mul_f64 v[8:9], v[84:85], v[12:13]
	s_waitcnt vmcnt(11) lgkmcnt(10)
	v_mul_f64 v[129:130], v[36:37], v[24:25]
	v_mul_f64 v[131:132], v[34:35], v[24:25]
	s_waitcnt vmcnt(10) lgkmcnt(9)
	v_mul_f64 v[133:134], v[40:41], v[28:29]
	v_mul_f64 v[28:29], v[38:39], v[28:29]
	s_waitcnt vmcnt(9) lgkmcnt(8)
	v_mul_f64 v[135:136], v[44:45], v[32:33]
	v_mul_f64 v[32:33], v[42:43], v[32:33]
	s_waitcnt vmcnt(8) lgkmcnt(7)
	v_mul_f64 v[137:138], v[48:49], v[80:81]
	v_mul_f64 v[80:81], v[46:47], v[80:81]
	s_waitcnt lgkmcnt(6)
	v_mul_f64 v[139:140], v[52:53], v[24:25]
	v_mul_f64 v[141:142], v[50:51], v[24:25]
	;; [unrolled: 1-line block ×3, first 2 shown]
	s_waitcnt vmcnt(7) lgkmcnt(5)
	v_mul_f64 v[143:144], v[88:89], v[16:17]
	v_mul_f64 v[16:17], v[86:87], v[16:17]
	s_waitcnt vmcnt(6) lgkmcnt(4)
	v_mul_f64 v[145:146], v[92:93], v[20:21]
	v_mul_f64 v[20:21], v[90:91], v[20:21]
	s_waitcnt lgkmcnt(3)
	v_mul_f64 v[147:148], v[104:105], v[24:25]
	v_mul_f64 v[24:25], v[102:103], v[24:25]
	s_waitcnt vmcnt(5) lgkmcnt(2)
	v_mul_f64 v[149:150], v[108:109], v[0:1]
	v_mul_f64 v[151:152], v[106:107], v[0:1]
	s_waitcnt vmcnt(4) lgkmcnt(1)
	;; [unrolled: 3-line block ×3, first 2 shown]
	v_mul_f64 v[157:158], v[125:126], v[4:5]
	v_mul_f64 v[159:160], v[123:124], v[4:5]
	ds_load_b128 v[0:3], v118
	ds_load_b128 v[4:7], v118 offset:1008
	v_fma_f64 v[8:9], v[82:83], v[10:11], v[8:9]
	v_fma_f64 v[34:35], v[34:35], v[22:23], v[129:130]
	v_fma_f64 v[36:37], v[36:37], v[22:23], -v[131:132]
	s_waitcnt vmcnt(2)
	v_fma_f64 v[38:39], v[38:39], v[94:95], v[133:134]
	v_fma_f64 v[40:41], v[40:41], v[94:95], -v[28:29]
	s_waitcnt vmcnt(1)
	;; [unrolled: 3-line block ×3, first 2 shown]
	v_fma_f64 v[46:47], v[46:47], v[127:128], v[137:138]
	v_fma_f64 v[48:49], v[48:49], v[127:128], -v[80:81]
	v_fma_f64 v[50:51], v[50:51], v[22:23], v[139:140]
	v_fma_f64 v[52:53], v[52:53], v[22:23], -v[141:142]
	v_fma_f64 v[10:11], v[84:85], v[10:11], -v[12:13]
	v_fma_f64 v[12:13], v[86:87], v[14:15], v[143:144]
	v_fma_f64 v[14:15], v[88:89], v[14:15], -v[16:17]
	v_fma_f64 v[16:17], v[90:91], v[18:19], v[145:146]
	;; [unrolled: 2-line block ×6, first 2 shown]
	ds_load_b128 v[80:83], v118 offset:2016
	v_fma_f64 v[78:79], v[125:126], v[78:79], -v[159:160]
	ds_load_b128 v[84:87], v118 offset:3024
	ds_load_b128 v[88:91], v118 offset:4032
	ds_load_b128 v[92:95], v118 offset:5040
	ds_load_b128 v[102:105], v118 offset:6048
	ds_load_b128 v[106:109], v118 offset:7056
	ds_load_b128 v[119:122], v118 offset:8064
	ds_load_b128 v[123:126], v118 offset:9072
	ds_load_b128 v[127:130], v118 offset:10080
	ds_load_b128 v[131:134], v118 offset:11088
	v_and_or_b32 v110, 0x1f8, v69, v62
	v_and_or_b32 v139, 0x3f8, v76, v60
	;; [unrolled: 1-line block ×5, first 2 shown]
	v_lshl_add_u32 v67, v110, 4, 0
	v_lshl_add_u32 v110, v139, 4, 0
	s_waitcnt lgkmcnt(0)
	s_barrier
	buffer_gl0_inv
	v_add_f64 v[34:35], v[0:1], -v[34:35]
	v_add_f64 v[36:37], v[2:3], -v[36:37]
	;; [unrolled: 1-line block ×24, first 2 shown]
	v_lshl_add_u32 v33, v64, 4, 0
	v_lshlrev_b32_e32 v32, 5, v68
	v_fma_f64 v[0:1], v[0:1], 2.0, -v[34:35]
	v_fma_f64 v[2:3], v[2:3], 2.0, -v[36:37]
	;; [unrolled: 1-line block ×24, first 2 shown]
	v_lshl_add_u32 v93, v111, 4, 0
	v_lshl_add_u32 v94, v140, 4, 0
	;; [unrolled: 1-line block ×4, first 2 shown]
	ds_store_b128 v33, v[0:3]
	ds_store_b128 v33, v[34:37] offset:64
	ds_store_b128 v58, v[4:7]
	ds_store_b128 v58, v[38:41] offset:64
	;; [unrolled: 2-line block ×12, first 2 shown]
	v_and_b32_e32 v69, 7, v101
	s_waitcnt lgkmcnt(0)
	s_barrier
	buffer_gl0_inv
	s_clause 0x1
	global_load_b128 v[0:3], v32, s[4:5] offset:96
	global_load_b128 v[8:11], v32, s[4:5] offset:112
	v_lshlrev_b32_e32 v4, 5, v69
	s_clause 0x1
	global_load_b128 v[12:15], v4, s[4:5] offset:96
	global_load_b128 v[4:7], v4, s[4:5] offset:112
	v_and_b32_e32 v70, 7, v97
	v_and_b32_e32 v72, 7, v113
	;; [unrolled: 1-line block ×5, first 2 shown]
	v_lshlrev_b32_e32 v16, 5, v70
	v_lshlrev_b32_e32 v24, 5, v72
	;; [unrolled: 1-line block ×3, first 2 shown]
	s_clause 0x5
	global_load_b128 v[20:23], v16, s[4:5] offset:96
	global_load_b128 v[16:19], v16, s[4:5] offset:112
	;; [unrolled: 1-line block ×6, first 2 shown]
	v_lshlrev_b32_e32 v40, 5, v74
	v_and_b32_e32 v76, 7, v98
	v_lshlrev_b32_e32 v52, 5, v75
	v_lshrrev_b32_e32 v73, 3, v112
	v_and_b32_e32 v85, 0xff, v112
	s_clause 0x2
	global_load_b128 v[48:51], v40, s[4:5] offset:96
	global_load_b128 v[44:47], v40, s[4:5] offset:112
	;; [unrolled: 1-line block ×3, first 2 shown]
	v_lshlrev_b32_e32 v60, 5, v76
	s_clause 0x2
	global_load_b128 v[52:55], v52, s[4:5] offset:112
	global_load_b128 v[56:59], v60, s[4:5] offset:96
	;; [unrolled: 1-line block ×3, first 2 shown]
	ds_load_b128 v[64:67], v118 offset:8064
	ds_load_b128 v[81:84], v118 offset:9072
	;; [unrolled: 1-line block ×3, first 2 shown]
	v_mul_u32_u24_e32 v86, 24, v73
	v_lshrrev_b32_e32 v87, 3, v101
	v_mul_lo_u16 v103, 0xab, v85
	v_lshrrev_b32_e32 v89, 3, v97
	v_lshrrev_b32_e32 v90, 3, v113
	v_or_b32_e32 v175, v86, v68
	v_mul_u32_u24_e32 v123, 24, v87
	ds_load_b128 v[85:88], v118 offset:17136
	v_lshrrev_b32_e32 v91, 3, v96
	v_lshrrev_b32_e32 v92, 3, v100
	;; [unrolled: 1-line block ×3, first 2 shown]
	v_mul_u32_u24_e32 v127, 24, v89
	v_mul_u32_u24_e32 v131, 24, v90
	;; [unrolled: 1-line block ×5, first 2 shown]
	v_lshrrev_b16 v68, 12, v103
	ds_load_b128 v[89:92], v118 offset:10080
	ds_load_b128 v[102:105], v118 offset:18144
	;; [unrolled: 1-line block ×4, first 2 shown]
	v_or_b32_e32 v179, v123, v69
	ds_load_b128 v[123:126], v118 offset:12096
	v_or_b32_e32 v187, v127, v70
	ds_load_b128 v[127:130], v118 offset:20160
	;; [unrolled: 2-line block ×3, first 2 shown]
	ds_load_b128 v[135:138], v118 offset:21168
	ds_load_b128 v[139:142], v118 offset:14112
	;; [unrolled: 1-line block ×5, first 2 shown]
	v_lshrrev_b32_e32 v95, 3, v99
	v_or_b32_e32 v190, v176, v71
	v_or_b32_e32 v191, v177, v74
	v_and_b32_e32 v73, 0xff, v97
	v_and_b32_e32 v117, 0xff, v101
	v_mul_u32_u24_e32 v95, 24, v95
	v_lshl_add_u32 v189, v175, 4, 0
	v_or_b32_e32 v192, v178, v76
	v_mul_lo_u16 v193, v68, 24
	v_mul_lo_u16 v117, 0xab, v117
	v_or_b32_e32 v95, v95, v75
	v_and_b32_e32 v68, 0xffff, v68
	s_delay_alu instid0(VALU_DEP_3) | instskip(SKIP_1) | instid1(VALU_DEP_4)
	v_lshrrev_b16 v70, 12, v117
	v_lshl_add_u32 v117, v179, 4, 0
	v_lshl_add_u32 v95, v95, 4, 0
	s_waitcnt vmcnt(15) lgkmcnt(15)
	v_mul_f64 v[93:94], v[66:67], v[2:3]
	s_waitcnt vmcnt(14) lgkmcnt(13)
	v_mul_f64 v[110:111], v[79:80], v[10:11]
	v_mul_f64 v[2:3], v[64:65], v[2:3]
	v_mul_f64 v[10:11], v[77:78], v[10:11]
	s_waitcnt vmcnt(13)
	v_mul_f64 v[155:156], v[83:84], v[14:15]
	s_waitcnt vmcnt(12) lgkmcnt(12)
	v_mul_f64 v[157:158], v[87:88], v[6:7]
	v_mul_f64 v[14:15], v[81:82], v[14:15]
	;; [unrolled: 1-line block ×3, first 2 shown]
	s_waitcnt vmcnt(11) lgkmcnt(11)
	v_mul_f64 v[159:160], v[91:92], v[22:23]
	v_mul_f64 v[22:23], v[89:90], v[22:23]
	s_waitcnt vmcnt(10) lgkmcnt(10)
	v_mul_f64 v[161:162], v[104:105], v[18:19]
	v_mul_f64 v[18:19], v[102:103], v[18:19]
	;; [unrolled: 3-line block ×8, first 2 shown]
	v_fma_f64 v[64:65], v[64:65], v[0:1], v[93:94]
	v_mul_f64 v[93:94], v[125:126], v[38:39]
	v_mul_f64 v[38:39], v[123:124], v[38:39]
	v_fma_f64 v[77:78], v[77:78], v[8:9], v[110:111]
	v_mul_f64 v[110:111], v[133:134], v[50:51]
	v_mul_f64 v[50:51], v[131:132], v[50:51]
	;; [unrolled: 3-line block ×4, first 2 shown]
	v_fma_f64 v[66:67], v[66:67], v[0:1], -v[2:3]
	v_fma_f64 v[79:80], v[79:80], v[8:9], -v[10:11]
	;; [unrolled: 1-line block ×4, first 2 shown]
	v_mul_lo_u16 v0, 0xab, v73
	v_fma_f64 v[71:72], v[89:90], v[20:21], v[159:160]
	v_fma_f64 v[74:75], v[91:92], v[20:21], -v[22:23]
	v_fma_f64 v[89:90], v[102:103], v[16:17], v[161:162]
	v_fma_f64 v[91:92], v[104:105], v[16:17], -v[18:19]
	;; [unrolled: 2-line block ×4, first 2 shown]
	v_lshrrev_b16 v69, 12, v0
	ds_load_b128 v[0:3], v118
	ds_load_b128 v[4:7], v118 offset:1008
	ds_load_b128 v[8:11], v118 offset:2016
	;; [unrolled: 1-line block ×7, first 2 shown]
	s_waitcnt lgkmcnt(0)
	s_barrier
	buffer_gl0_inv
	v_mul_lo_u16 v73, v73, 57
	v_fma_f64 v[93:94], v[123:124], v[36:37], v[93:94]
	v_fma_f64 v[36:37], v[125:126], v[36:37], -v[38:39]
	v_fma_f64 v[38:39], v[127:128], v[32:33], v[167:168]
	v_fma_f64 v[32:33], v[129:130], v[32:33], -v[34:35]
	;; [unrolled: 2-line block ×8, first 2 shown]
	v_add_f64 v[62:63], v[64:65], v[77:78]
	v_add_f64 v[110:111], v[66:67], v[79:80]
	;; [unrolled: 1-line block ×16, first 2 shown]
	v_add_f64 v[66:67], v[66:67], -v[79:80]
	v_add_f64 v[64:65], v[64:65], -v[77:78]
	;; [unrolled: 1-line block ×6, first 2 shown]
	v_add_f64 v[161:162], v[16:17], v[93:94]
	v_add_f64 v[157:158], v[18:19], v[36:37]
	;; [unrolled: 1-line block ×4, first 2 shown]
	v_add_f64 v[165:166], v[36:37], -v[32:33]
	v_add_f64 v[167:168], v[22:23], v[48:49]
	v_add_f64 v[151:152], v[34:35], v[50:51]
	;; [unrolled: 1-line block ×3, first 2 shown]
	v_add_f64 v[179:180], v[48:49], -v[44:45]
	v_add_f64 v[173:174], v[24:25], v[46:47]
	v_add_f64 v[155:156], v[46:47], v[42:43]
	;; [unrolled: 1-line block ×7, first 2 shown]
	v_fma_f64 v[62:63], v[62:63], -0.5, v[0:1]
	v_fma_f64 v[48:49], v[110:111], -0.5, v[2:3]
	;; [unrolled: 1-line block ×5, first 2 shown]
	v_add_f64 v[185:186], v[56:57], -v[60:61]
	v_fma_f64 v[56:57], v[133:134], -0.5, v[10:11]
	v_add_f64 v[171:172], v[26:27], v[40:41]
	v_add_f64 v[104:105], v[104:105], -v[108:109]
	v_add_f64 v[102:103], v[102:103], -v[106:107]
	v_add_f64 v[177:178], v[28:29], v[54:55]
	v_fma_f64 v[139:140], v[139:140], -0.5, v[12:13]
	v_add_f64 v[2:3], v[119:120], v[79:80]
	v_fma_f64 v[79:80], v[141:142], -0.5, v[14:15]
	v_add_f64 v[93:94], v[93:94], -v[38:39]
	v_add_f64 v[0:1], v[121:122], v[77:78]
	v_add_f64 v[6:7], v[127:128], v[87:88]
	v_add_f64 v[110:111], v[34:35], -v[50:51]
	v_add_f64 v[4:5], v[129:130], v[85:86]
	v_add_f64 v[10:11], v[135:136], v[91:92]
	v_add_f64 v[181:182], v[40:41], -v[52:53]
	v_add_f64 v[183:184], v[46:47], -v[42:43]
	v_add_f64 v[8:9], v[137:138], v[89:90]
	v_add_f64 v[14:15], v[145:146], v[108:109]
	v_fma_f64 v[76:77], v[143:144], -0.5, v[16:17]
	v_fma_f64 v[87:88], v[147:148], -0.5, v[18:19]
	v_add_f64 v[133:134], v[54:55], -v[58:59]
	v_add_f64 v[12:13], v[149:150], v[106:107]
	v_fma_f64 v[85:86], v[151:152], -0.5, v[20:21]
	v_fma_f64 v[91:92], v[153:154], -0.5, v[22:23]
	v_add_f64 v[18:19], v[157:158], v[32:33]
	v_add_f64 v[16:17], v[161:162], v[38:39]
	v_fma_f64 v[89:90], v[155:156], -0.5, v[24:25]
	v_fma_f64 v[108:109], v[159:160], -0.5, v[26:27]
	v_add_f64 v[24:25], v[173:174], v[42:43]
	v_add_f64 v[22:23], v[167:168], v[44:45]
	v_fma_f64 v[106:107], v[163:164], -0.5, v[28:29]
	v_fma_f64 v[119:120], v[36:37], -0.5, v[30:31]
	v_fma_f64 v[32:33], v[66:67], s[2:3], v[62:63]
	v_fma_f64 v[34:35], v[64:65], s[6:7], v[48:49]
	;; [unrolled: 1-line block ×8, first 2 shown]
	v_add_f64 v[20:21], v[169:170], v[50:51]
	v_fma_f64 v[48:49], v[74:75], s[2:3], v[131:132]
	v_fma_f64 v[50:51], v[71:72], s[6:7], v[56:57]
	v_add_f64 v[26:27], v[171:172], v[52:53]
	v_fma_f64 v[52:53], v[74:75], s[6:7], v[131:132]
	v_fma_f64 v[54:55], v[71:72], s[2:3], v[56:57]
	;; [unrolled: 3-line block ×4, first 2 shown]
	v_sub_nc_u16 v71, v112, v193
	v_lshl_add_u32 v72, v187, 4, 0
	v_fma_f64 v[64:65], v[165:166], s[2:3], v[76:77]
	v_fma_f64 v[66:67], v[93:94], s[6:7], v[87:88]
	;; [unrolled: 1-line block ×16, first 2 shown]
	v_and_b32_e32 v71, 0xff, v71
	v_mul_lo_u16 v111, v70, 24
	v_lshl_add_u32 v94, v188, 4, 0
	v_lshl_add_u32 v110, v190, 4, 0
	;; [unrolled: 1-line block ×3, first 2 shown]
	v_lshlrev_b32_e32 v121, 5, v71
	v_lshl_add_u32 v120, v192, 4, 0
	ds_store_b128 v189, v[0:3]
	ds_store_b128 v189, v[32:35] offset:128
	ds_store_b128 v189, v[36:39] offset:256
	ds_store_b128 v117, v[4:7]
	ds_store_b128 v117, v[40:43] offset:128
	ds_store_b128 v117, v[44:47] offset:256
	;; [unrolled: 3-line block ×8, first 2 shown]
	s_waitcnt lgkmcnt(0)
	s_barrier
	buffer_gl0_inv
	global_load_b128 v[0:3], v121, s[4:5] offset:352
	v_sub_nc_u16 v111, v101, v111
	v_mul_lo_u16 v8, v69, 24
	v_and_b32_e32 v85, 0xff, v113
	global_load_b128 v[4:7], v121, s[4:5] offset:368
	v_dual_mov_b32 v117, 0 :: v_dual_and_b32 v72, 0xff, v111
	v_sub_nc_u16 v13, v97, v8
	v_and_b32_e32 v86, 0xffff, v96
	v_mul_lo_u16 v14, 0xab, v85
	v_and_b32_e32 v88, 0xffff, v100
	v_lshlrev_b32_e32 v12, 5, v72
	v_and_b32_e32 v79, 0xff, v13
	v_mul_u32_u24_e32 v13, 0xaaab, v86
	v_lshrrev_b16 v80, 12, v14
	v_and_b32_e32 v89, 0xffff, v99
	s_clause 0x1
	global_load_b128 v[8:11], v12, s[4:5] offset:352
	global_load_b128 v[48:51], v12, s[4:5] offset:368
	v_lshlrev_b32_e32 v12, 5, v79
	v_mul_u32_u24_e32 v14, 0xaaab, v88
	v_and_b32_e32 v87, 0xffff, v98
	v_mul_lo_u16 v16, v80, 24
	v_lshrrev_b32_e32 v81, 20, v13
	s_clause 0x1
	global_load_b128 v[56:59], v12, s[4:5] offset:352
	global_load_b128 v[52:55], v12, s[4:5] offset:368
	v_mul_u32_u24_e32 v15, 0xaaab, v89
	v_lshrrev_b32_e32 v82, 20, v14
	v_mul_u32_u24_e32 v13, 0xaaab, v87
	v_sub_nc_u16 v14, v113, v16
	v_mul_lo_u16 v16, v81, 24
	v_lshrrev_b32_e32 v83, 20, v15
	v_mul_lo_u16 v15, v82, 24
	v_lshrrev_b32_e32 v84, 20, v13
	v_and_b32_e32 v78, 0xff, v14
	v_sub_nc_u16 v12, v96, v16
	v_mul_lo_u16 v13, v83, 24
	v_sub_nc_u16 v14, v100, v15
	v_add_nc_u32_e32 v90, -9, v112
	v_lshlrev_b32_e32 v15, 5, v78
	v_and_b32_e32 v74, 0xffff, v12
	v_mul_lo_u16 v12, v84, 24
	v_sub_nc_u16 v13, v99, v13
	v_and_b32_e32 v75, 0xffff, v14
	global_load_b128 v[44:47], v15, s[4:5] offset:352
	v_lshlrev_b32_e32 v14, 5, v74
	v_sub_nc_u16 v12, v98, v12
	v_and_b32_e32 v76, 0xffff, v13
	global_load_b128 v[40:43], v15, s[4:5] offset:368
	v_lshlrev_b32_e32 v13, 5, v75
	global_load_b128 v[20:23], v14, s[4:5] offset:368
	v_and_b32_e32 v77, 0xffff, v12
	global_load_b128 v[24:27], v14, s[4:5] offset:352
	v_lshlrev_b32_e32 v12, 5, v76
	s_clause 0x2
	global_load_b128 v[32:35], v13, s[4:5] offset:352
	global_load_b128 v[28:31], v13, s[4:5] offset:368
	;; [unrolled: 1-line block ×3, first 2 shown]
	v_lshlrev_b32_e32 v60, 5, v77
	s_clause 0x2
	global_load_b128 v[12:15], v12, s[4:5] offset:368
	global_load_b128 v[36:39], v60, s[4:5] offset:352
	;; [unrolled: 1-line block ×3, first 2 shown]
	ds_load_b128 v[64:67], v118 offset:8064
	ds_load_b128 v[91:94], v118 offset:16128
	ds_load_b128 v[105:108], v118 offset:17136
	v_cndmask_b32_e64 v90, v90, v101, s0
	ds_load_b128 v[101:104], v118 offset:9072
	v_mul_lo_u16 v95, v85, 57
	v_mul_u32_u24_e32 v111, 0xe38f, v86
	v_mul_u32_u24_e32 v200, 0xe38f, v87
	;; [unrolled: 1-line block ×3, first 2 shown]
	v_and_b32_e32 v89, 0xffff, v69
	v_and_b32_e32 v70, 0xffff, v70
	v_lshlrev_b64 v[109:110], 4, v[116:117]
	v_lshlrev_b32_e32 v116, 1, v90
	v_lshlrev_b32_e32 v206, 4, v72
	;; [unrolled: 1-line block ×3, first 2 shown]
	v_mul_u32_u24_e32 v202, 0x480, v70
	v_mul_u32_u24_e32 v201, 0x480, v84
	v_lshlrev_b64 v[165:166], 4, v[116:117]
	v_mul_u32_u24_e32 v116, 0x480, v83
	v_lshlrev_b32_e32 v208, 4, v78
	v_mul_u32_u24_e32 v203, 0x480, v89
	v_add_co_u32 v109, s0, s4, v109
	s_delay_alu instid0(VALU_DEP_1)
	v_add_co_ci_u32_e64 v110, s0, s5, v110, s0
	v_lshlrev_b32_e32 v90, 4, v90
	s_waitcnt vmcnt(15) lgkmcnt(3)
	v_mul_f64 v[155:156], v[66:67], v[2:3]
	v_mul_f64 v[157:158], v[64:65], v[2:3]
	v_mul_u32_u24_e32 v2, 0xe38f, v88
	ds_load_b128 v[85:88], v118 offset:10080
	ds_load_b128 v[119:122], v118 offset:18144
	s_waitcnt vmcnt(14) lgkmcnt(4)
	v_mul_f64 v[159:160], v[93:94], v[6:7]
	v_mul_f64 v[161:162], v[91:92], v[6:7]
	ds_load_b128 v[123:126], v118 offset:11088
	ds_load_b128 v[131:134], v118 offset:12096
	;; [unrolled: 1-line block ×8, first 2 shown]
	v_lshrrev_b16 v7, 12, v73
	v_mul_u32_u24_e32 v73, 0x480, v68
	v_lshrrev_b16 v6, 12, v95
	v_lshrrev_b32_e32 v3, 22, v111
	v_mul_u32_u24_e32 v95, 0x480, v81
	s_waitcnt vmcnt(13) lgkmcnt(10)
	v_mul_f64 v[163:164], v[103:104], v[10:11]
	s_waitcnt vmcnt(12)
	v_mul_f64 v[167:168], v[107:108], v[50:51]
	v_mul_f64 v[50:51], v[105:106], v[50:51]
	;; [unrolled: 1-line block ×3, first 2 shown]
	v_mul_u32_u24_e32 v111, 0x480, v82
	v_lshrrev_b32_e32 v2, 22, v2
	s_waitcnt vmcnt(11) lgkmcnt(9)
	v_mul_f64 v[169:170], v[87:88], v[58:59]
	v_mul_f64 v[58:59], v[85:86], v[58:59]
	s_waitcnt vmcnt(10) lgkmcnt(8)
	v_mul_f64 v[171:172], v[121:122], v[54:55]
	v_mul_f64 v[54:55], v[119:120], v[54:55]
	v_fma_f64 v[68:69], v[64:65], v[0:1], v[155:156]
	v_fma_f64 v[0:1], v[66:67], v[0:1], -v[157:158]
	ds_load_b128 v[64:67], v118 offset:22176
	ds_load_b128 v[155:158], v118 offset:23184
	v_fma_f64 v[91:92], v[91:92], v[4:5], v[159:160]
	s_waitcnt vmcnt(9) lgkmcnt(9)
	v_mul_f64 v[173:174], v[125:126], v[46:47]
	v_mul_f64 v[46:47], v[123:124], v[46:47]
	v_fma_f64 v[4:5], v[93:94], v[4:5], -v[161:162]
	s_waitcnt vmcnt(8) lgkmcnt(7)
	v_mul_f64 v[175:176], v[129:130], v[42:43]
	v_mul_f64 v[93:94], v[127:128], v[42:43]
	s_waitcnt vmcnt(7) lgkmcnt(6)
	v_mul_f64 v[161:162], v[137:138], v[22:23]
	v_mul_f64 v[22:23], v[135:136], v[22:23]
	s_waitcnt vmcnt(6)
	v_mul_f64 v[159:160], v[133:134], v[26:27]
	v_mul_f64 v[26:27], v[131:132], v[26:27]
	v_fma_f64 v[101:102], v[101:102], v[8:9], v[163:164]
	s_waitcnt vmcnt(5) lgkmcnt(5)
	v_mul_f64 v[163:164], v[141:142], v[34:35]
	v_mul_f64 v[34:35], v[139:140], v[34:35]
	s_waitcnt vmcnt(4) lgkmcnt(4)
	v_mul_f64 v[177:178], v[145:146], v[30:31]
	v_mul_f64 v[30:31], v[143:144], v[30:31]
	v_fma_f64 v[105:106], v[105:106], v[48:49], v[167:168]
	v_fma_f64 v[50:51], v[107:108], v[48:49], -v[50:51]
	s_waitcnt vmcnt(3) lgkmcnt(3)
	v_mul_f64 v[107:108], v[149:150], v[18:19]
	v_mul_f64 v[18:19], v[147:148], v[18:19]
	s_waitcnt vmcnt(2) lgkmcnt(1)
	v_mul_f64 v[167:168], v[66:67], v[14:15]
	v_mul_f64 v[14:15], v[64:65], v[14:15]
	v_fma_f64 v[85:86], v[85:86], v[56:57], v[169:170]
	v_fma_f64 v[56:57], v[87:88], v[56:57], -v[58:59]
	s_waitcnt vmcnt(1)
	v_mul_f64 v[58:59], v[153:154], v[38:39]
	s_waitcnt vmcnt(0) lgkmcnt(0)
	v_mul_f64 v[87:88], v[157:158], v[62:63]
	v_mul_f64 v[169:170], v[151:152], v[38:39]
	v_fma_f64 v[119:120], v[119:120], v[52:53], v[171:172]
	v_fma_f64 v[52:53], v[121:122], v[52:53], -v[54:55]
	v_mul_f64 v[54:55], v[155:156], v[62:63]
	v_fma_f64 v[103:104], v[103:104], v[8:9], -v[10:11]
	v_lshlrev_b32_e32 v9, 4, v71
	v_and_b32_e32 v8, 0xffff, v80
	s_delay_alu instid0(VALU_DEP_2) | instskip(NEXT) | instid1(VALU_DEP_2)
	v_add3_u32 v205, 0, v73, v9
	v_mul_u32_u24_e32 v204, 0x480, v8
	v_fma_f64 v[62:63], v[123:124], v[44:45], v[173:174]
	v_fma_f64 v[70:71], v[125:126], v[44:45], -v[46:47]
	ds_load_b128 v[8:11], v118
	ds_load_b128 v[42:45], v118 offset:1008
	v_fma_f64 v[72:73], v[127:128], v[40:41], v[175:176]
	v_fma_f64 v[79:80], v[129:130], v[40:41], -v[93:94]
	v_fma_f64 v[93:94], v[135:136], v[20:21], v[161:162]
	v_fma_f64 v[121:122], v[137:138], v[20:21], -v[22:23]
	;; [unrolled: 2-line block ×3, first 2 shown]
	ds_load_b128 v[38:41], v118 offset:2016
	ds_load_b128 v[46:49], v118 offset:3024
	v_add_f64 v[127:128], v[0:1], v[4:5]
	v_fma_f64 v[123:124], v[139:140], v[32:33], v[163:164]
	v_fma_f64 v[32:33], v[141:142], v[32:33], -v[34:35]
	v_fma_f64 v[34:35], v[143:144], v[28:29], v[177:178]
	v_fma_f64 v[125:126], v[145:146], v[28:29], -v[30:31]
	;; [unrolled: 2-line block ×4, first 2 shown]
	v_add_f64 v[107:108], v[68:69], v[91:92]
	s_waitcnt lgkmcnt(3)
	v_add_f64 v[135:136], v[10:11], v[0:1]
	v_fma_f64 v[58:59], v[151:152], v[36:37], v[58:59]
	v_fma_f64 v[87:88], v[155:156], v[60:61], v[87:88]
	v_fma_f64 v[36:37], v[153:154], v[36:37], -v[169:170]
	v_add_f64 v[131:132], v[85:86], v[119:120]
	v_add_f64 v[133:134], v[56:57], v[52:53]
	v_fma_f64 v[54:55], v[157:158], v[60:61], -v[54:55]
	v_add_f64 v[60:61], v[101:102], v[105:106]
	v_add_f64 v[129:130], v[103:104], v[50:51]
	;; [unrolled: 1-line block ×3, first 2 shown]
	s_waitcnt lgkmcnt(2)
	v_add_f64 v[141:142], v[42:43], v[101:102]
	ds_load_b128 v[12:15], v118 offset:4032
	ds_load_b128 v[16:19], v118 offset:5040
	;; [unrolled: 1-line block ×4, first 2 shown]
	v_add_f64 v[139:140], v[44:45], v[103:104]
	s_waitcnt lgkmcnt(5)
	v_add_f64 v[145:146], v[38:39], v[85:86]
	v_add_f64 v[0:1], v[0:1], -v[4:5]
	s_waitcnt lgkmcnt(4)
	v_add_f64 v[153:154], v[46:47], v[62:63]
	v_add_f64 v[68:69], v[68:69], -v[91:92]
	v_add_f64 v[143:144], v[40:41], v[56:57]
	v_add_f64 v[103:104], v[103:104], -v[50:51]
	v_add_f64 v[147:148], v[62:63], v[72:73]
	v_add_f64 v[149:150], v[70:71], v[79:80]
	v_add_f64 v[101:102], v[101:102], -v[105:106]
	v_add_f64 v[183:184], v[56:57], -v[52:53]
	v_add_f64 v[155:156], v[81:82], v[93:94]
	v_add_f64 v[157:158], v[83:84], v[121:122]
	v_add_f64 v[85:86], v[85:86], -v[119:120]
	v_fma_f64 v[127:128], v[127:128], -0.5, v[10:11]
	v_add_f64 v[151:152], v[48:49], v[70:71]
	s_waitcnt lgkmcnt(3)
	v_add_f64 v[161:162], v[12:13], v[81:82]
	v_add_f64 v[163:164], v[123:124], v[34:35]
	v_add_f64 v[167:168], v[32:33], v[125:126]
	s_waitcnt lgkmcnt(2)
	v_add_f64 v[171:172], v[16:17], v[123:124]
	v_add_f64 v[70:71], v[70:71], -v[79:80]
	v_add_f64 v[185:186], v[62:63], -v[72:73]
	s_waitcnt lgkmcnt(1)
	v_add_f64 v[179:180], v[22:23], v[30:31]
	v_add_f64 v[173:174], v[28:29], v[64:65]
	v_add_f64 v[175:176], v[30:31], v[66:67]
	v_fma_f64 v[107:108], v[107:108], -0.5, v[8:9]
	v_add_f64 v[187:188], v[81:82], -v[93:94]
	v_add_f64 v[10:11], v[135:136], v[4:5]
	v_add_f64 v[177:178], v[58:59], v[87:88]
	;; [unrolled: 1-line block ×3, first 2 shown]
	v_fma_f64 v[131:132], v[131:132], -0.5, v[38:39]
	v_fma_f64 v[133:134], v[133:134], -0.5, v[40:41]
	v_add_f64 v[181:182], v[36:37], v[54:55]
	v_fma_f64 v[60:61], v[60:61], -0.5, v[42:43]
	v_add_f64 v[42:43], v[20:21], v[28:29]
	s_waitcnt lgkmcnt(0)
	v_add_f64 v[40:41], v[24:25], v[58:59]
	v_fma_f64 v[129:130], v[129:130], -0.5, v[44:45]
	v_add_f64 v[44:45], v[26:27], v[36:37]
	v_add_f64 v[83:84], v[83:84], -v[121:122]
	v_add_f64 v[8:9], v[137:138], v[91:92]
	v_add_f64 v[169:170], v[18:19], v[32:33]
	v_add_f64 v[189:190], v[32:33], -v[125:126]
	v_add_f64 v[123:124], v[123:124], -v[34:35]
	;; [unrolled: 1-line block ×3, first 2 shown]
	v_add_f64 v[28:29], v[141:142], v[105:106]
	v_fma_f64 v[81:82], v[147:148], -0.5, v[46:47]
	v_fma_f64 v[4:5], v[149:150], -0.5, v[48:49]
	v_add_f64 v[191:192], v[30:31], -v[66:67]
	v_add_f64 v[30:31], v[139:140], v[50:51]
	v_fma_f64 v[91:92], v[155:156], -0.5, v[12:13]
	v_fma_f64 v[135:136], v[157:158], -0.5, v[14:15]
	v_add_f64 v[12:13], v[145:146], v[119:120]
	v_add_f64 v[195:196], v[36:37], -v[54:55]
	v_add_f64 v[197:198], v[58:59], -v[87:88]
	v_fma_f64 v[46:47], v[68:69], s[2:3], v[127:128]
	v_fma_f64 v[105:106], v[163:164], -0.5, v[16:17]
	v_fma_f64 v[137:138], v[167:168], -0.5, v[18:19]
	v_add_f64 v[16:17], v[153:154], v[72:73]
	v_add_f64 v[14:15], v[143:144], v[52:53]
	;; [unrolled: 1-line block ×3, first 2 shown]
	v_fma_f64 v[119:120], v[173:174], -0.5, v[20:21]
	v_fma_f64 v[139:140], v[175:176], -0.5, v[22:23]
	v_add_f64 v[20:21], v[161:162], v[93:94]
	s_barrier
	buffer_gl0_inv
	v_fma_f64 v[72:73], v[177:178], -0.5, v[24:25]
	v_add_f64 v[24:25], v[171:172], v[34:35]
	v_fma_f64 v[56:57], v[183:184], s[2:3], v[131:132]
	v_fma_f64 v[58:59], v[85:86], s[6:7], v[133:134]
	v_fma_f64 v[141:142], v[181:182], -0.5, v[26:27]
	v_fma_f64 v[48:49], v[103:104], s[2:3], v[60:61]
	v_add_f64 v[32:33], v[42:43], v[64:65]
	v_add_f64 v[36:37], v[40:41], v[87:88]
	v_fma_f64 v[40:41], v[0:1], s[2:3], v[107:108]
	v_fma_f64 v[42:43], v[68:69], s[6:7], v[127:128]
	v_add_f64 v[38:39], v[44:45], v[54:55]
	v_fma_f64 v[44:45], v[0:1], s[6:7], v[107:108]
	v_fma_f64 v[50:51], v[101:102], s[6:7], v[129:130]
	;; [unrolled: 1-line block ×6, first 2 shown]
	v_add_f64 v[34:35], v[179:180], v[66:67]
	v_fma_f64 v[64:65], v[70:71], s[2:3], v[81:82]
	v_fma_f64 v[66:67], v[185:186], s[6:7], v[4:5]
	v_fma_f64 v[68:69], v[70:71], s[6:7], v[81:82]
	v_fma_f64 v[70:71], v[185:186], s[2:3], v[4:5]
	v_add_f64 v[22:23], v[159:160], v[121:122]
	v_fma_f64 v[78:79], v[83:84], s[2:3], v[91:92]
	v_fma_f64 v[80:81], v[187:188], s[6:7], v[135:136]
	v_fma_f64 v[82:83], v[83:84], s[6:7], v[91:92]
	v_fma_f64 v[84:85], v[187:188], s[2:3], v[135:136]
	;; [unrolled: 5-line block ×3, first 2 shown]
	v_lshlrev_b32_e32 v4, 4, v76
	v_fma_f64 v[101:102], v[191:192], s[2:3], v[119:120]
	v_fma_f64 v[103:104], v[193:194], s[6:7], v[139:140]
	;; [unrolled: 1-line block ×4, first 2 shown]
	v_lshlrev_b32_e32 v0, 4, v74
	v_fma_f64 v[119:120], v[195:196], s[2:3], v[72:73]
	v_fma_f64 v[123:124], v[195:196], s[6:7], v[72:73]
	v_lshlrev_b32_e32 v1, 4, v75
	v_lshlrev_b32_e32 v5, 4, v77
	v_fma_f64 v[121:122], v[197:198], s[6:7], v[141:142]
	v_fma_f64 v[125:126], v[197:198], s[2:3], v[141:142]
	v_add3_u32 v72, 0, v202, v206
	v_add3_u32 v4, 0, v116, v4
	;; [unrolled: 1-line block ×7, first 2 shown]
	ds_store_b128 v205, v[8:11]
	ds_store_b128 v205, v[40:43] offset:384
	ds_store_b128 v205, v[44:47] offset:768
	ds_store_b128 v72, v[28:31]
	ds_store_b128 v72, v[48:51] offset:384
	ds_store_b128 v72, v[52:55] offset:768
	;; [unrolled: 3-line block ×8, first 2 shown]
	v_add_co_u32 v4, s0, s4, v165
	s_delay_alu instid0(VALU_DEP_1)
	v_add_co_ci_u32_e64 v5, s0, s5, v166, s0
	s_waitcnt lgkmcnt(0)
	s_barrier
	buffer_gl0_inv
	global_load_b128 v[18:21], v[109:110], off offset:1136
	v_mul_lo_u16 v1, 0x48, v7
	global_load_b128 v[22:25], v[4:5], off offset:1120
	v_lshrrev_b32_e32 v12, 22, v200
	v_mul_lo_u16 v13, 0x48, v6
	v_mul_lo_u16 v14, 0x48, v3
	v_sub_nc_u16 v1, v97, v1
	v_lshrrev_b32_e32 v0, 22, v199
	v_mul_lo_u16 v15, 0x48, v2
	v_sub_nc_u16 v17, v113, v13
	s_clause 0x1
	global_load_b128 v[8:11], v[109:110], off offset:1120
	global_load_b128 v[26:29], v[4:5], off offset:1136
	v_and_b32_e32 v13, 0xff, v1
	v_mul_lo_u16 v1, 0x48, v12
	v_sub_nc_u16 v12, v96, v14
	v_mul_lo_u16 v16, 0x48, v0
	v_sub_nc_u16 v34, v100, v15
	v_and_b32_e32 v14, 0xff, v17
	v_lshlrev_b32_e32 v17, 5, v13
	v_and_b32_e32 v15, 0xffff, v12
	v_sub_nc_u16 v46, v99, v16
	v_and_b32_e32 v16, 0xffff, v34
	v_sub_nc_u16 v1, v98, v1
	global_load_b128 v[34:37], v17, s[4:5] offset:1136
	v_lshlrev_b32_e32 v5, 5, v15
	v_lshlrev_b32_e32 v4, 5, v14
	global_load_b128 v[30:33], v17, s[4:5] offset:1120
	v_and_b32_e32 v12, 0xffff, v1
	v_cmp_lt_u32_e64 s0, 8, v112
	global_load_b128 v[50:53], v5, s[4:5] offset:1136
	v_and_b32_e32 v17, 0xffff, v46
	s_clause 0x1
	global_load_b128 v[38:41], v4, s[4:5] offset:1120
	global_load_b128 v[42:45], v4, s[4:5] offset:1136
	v_lshlrev_b32_e32 v4, 5, v16
	global_load_b128 v[46:49], v5, s[4:5] offset:1120
	v_lshlrev_b32_e32 v1, 5, v17
	v_mul_u32_u24_e32 v181, 0xd80, v3
	v_mul_u32_u24_e32 v182, 0xd80, v2
	s_clause 0x2
	global_load_b128 v[54:57], v4, s[4:5] offset:1120
	global_load_b128 v[58:61], v4, s[4:5] offset:1136
	;; [unrolled: 1-line block ×3, first 2 shown]
	v_lshlrev_b32_e32 v4, 5, v12
	s_clause 0x2
	global_load_b128 v[66:69], v1, s[4:5] offset:1136
	global_load_b128 v[70:73], v4, s[4:5] offset:1120
	;; [unrolled: 1-line block ×3, first 2 shown]
	ds_load_b128 v[78:81], v118 offset:8064
	ds_load_b128 v[82:85], v118 offset:16128
	;; [unrolled: 1-line block ×16, first 2 shown]
	v_cndmask_b32_e64 v1, 0, 0xd80, s0
	v_mul_u32_u24_e32 v183, 0xd80, v0
	v_lshlrev_b32_e32 v13, 4, v13
	v_lshlrev_b32_e32 v14, 4, v14
	;; [unrolled: 1-line block ×3, first 2 shown]
	v_add3_u32 v116, 0, v1, v90
	v_and_b32_e32 v1, 0xffff, v7
	v_lshlrev_b32_e32 v16, 4, v16
	v_lshlrev_b32_e32 v17, 4, v17
	v_lshl_add_u32 v12, v12, 4, 0
	v_add3_u32 v15, 0, v181, v15
	v_mul_u32_u24_e32 v184, 0xd80, v1
	v_add3_u32 v16, 0, v182, v16
	v_add3_u32 v17, 0, v183, v17
	v_cmp_gt_u32_e64 s0, 27, v112
	s_delay_alu instid0(VALU_DEP_4)
	v_add3_u32 v13, 0, v184, v13
	s_waitcnt vmcnt(15) lgkmcnt(14)
	v_mul_f64 v[151:152], v[84:85], v[20:21]
	v_mul_f64 v[20:21], v[82:83], v[20:21]
	s_waitcnt vmcnt(14) lgkmcnt(13)
	v_mul_f64 v[153:154], v[88:89], v[24:25]
	v_mul_f64 v[24:25], v[86:87], v[24:25]
	s_waitcnt vmcnt(13)
	v_mul_f64 v[4:5], v[80:81], v[10:11]
	v_mul_f64 v[10:11], v[78:79], v[10:11]
	s_waitcnt vmcnt(12) lgkmcnt(12)
	v_mul_f64 v[155:156], v[93:94], v[28:29]
	v_mul_f64 v[28:29], v[91:92], v[28:29]
	s_waitcnt vmcnt(11) lgkmcnt(10)
	v_mul_f64 v[159:160], v[101:102], v[36:37]
	v_mul_f64 v[36:37], v[99:100], v[36:37]
	s_waitcnt vmcnt(10)
	v_mul_f64 v[157:158], v[97:98], v[32:33]
	v_mul_f64 v[32:33], v[95:96], v[32:33]
	s_waitcnt vmcnt(9) lgkmcnt(6)
	v_mul_f64 v[167:168], v[125:126], v[52:53]
	v_mul_f64 v[52:53], v[123:124], v[52:53]
	s_waitcnt vmcnt(8)
	v_mul_f64 v[161:162], v[105:106], v[40:41]
	v_mul_f64 v[40:41], v[103:104], v[40:41]
	s_waitcnt vmcnt(7)
	;; [unrolled: 3-line block ×3, first 2 shown]
	v_mul_f64 v[165:166], v[121:122], v[48:49]
	v_mul_f64 v[48:49], v[119:120], v[48:49]
	s_waitcnt vmcnt(5) lgkmcnt(5)
	v_mul_f64 v[169:170], v[129:130], v[56:57]
	v_mul_f64 v[56:57], v[127:128], v[56:57]
	s_waitcnt vmcnt(4) lgkmcnt(4)
	v_mul_f64 v[171:172], v[133:134], v[60:61]
	v_mul_f64 v[60:61], v[131:132], v[60:61]
	v_fma_f64 v[82:83], v[82:83], v[18:19], v[151:152]
	s_waitcnt vmcnt(3) lgkmcnt(3)
	v_mul_f64 v[151:152], v[137:138], v[64:65]
	v_mul_f64 v[64:65], v[135:136], v[64:65]
	s_waitcnt vmcnt(2) lgkmcnt(1)
	v_mul_f64 v[173:174], v[145:146], v[68:69]
	v_mul_f64 v[68:69], v[143:144], v[68:69]
	v_fma_f64 v[86:87], v[86:87], v[22:23], v[153:154]
	v_fma_f64 v[88:89], v[88:89], v[22:23], -v[24:25]
	s_waitcnt vmcnt(1)
	v_mul_f64 v[22:23], v[141:142], v[72:73]
	v_mul_f64 v[24:25], v[139:140], v[72:73]
	s_waitcnt vmcnt(0) lgkmcnt(0)
	v_mul_f64 v[72:73], v[149:150], v[76:77]
	v_mul_f64 v[76:77], v[147:148], v[76:77]
	v_fma_f64 v[78:79], v[78:79], v[8:9], v[4:5]
	v_fma_f64 v[80:81], v[80:81], v[8:9], -v[10:11]
	v_fma_f64 v[84:85], v[84:85], v[18:19], -v[20:21]
	v_fma_f64 v[90:91], v[91:92], v[26:27], v[155:156]
	v_fma_f64 v[92:93], v[93:94], v[26:27], -v[28:29]
	v_and_b32_e32 v4, 0xffff, v6
	s_delay_alu instid0(VALU_DEP_1)
	v_mul_u32_u24_e32 v185, 0xd80, v4
	v_fma_f64 v[94:95], v[95:96], v[30:31], v[157:158]
	v_fma_f64 v[96:97], v[97:98], v[30:31], -v[32:33]
	v_fma_f64 v[98:99], v[99:100], v[34:35], v[159:160]
	v_fma_f64 v[100:101], v[101:102], v[34:35], -v[36:37]
	ds_load_b128 v[0:3], v118
	ds_load_b128 v[4:7], v118 offset:1008
	v_fma_f64 v[102:103], v[103:104], v[38:39], v[161:162]
	v_fma_f64 v[38:39], v[105:106], v[38:39], -v[40:41]
	v_fma_f64 v[104:105], v[107:108], v[42:43], v[163:164]
	v_fma_f64 v[42:43], v[109:110], v[42:43], -v[44:45]
	;; [unrolled: 2-line block ×8, first 2 shown]
	ds_load_b128 v[8:11], v118 offset:2016
	ds_load_b128 v[18:21], v118 offset:3024
	v_add3_u32 v14, 0, v185, v14
	v_fma_f64 v[66:67], v[139:140], v[70:71], v[22:23]
	v_fma_f64 v[68:69], v[141:142], v[70:71], -v[24:25]
	v_fma_f64 v[70:71], v[147:148], v[74:75], v[72:73]
	v_fma_f64 v[72:73], v[149:150], v[74:75], -v[76:77]
	v_add_f64 v[74:75], v[78:79], v[82:83]
	ds_load_b128 v[22:25], v118 offset:4032
	ds_load_b128 v[26:29], v118 offset:5040
	;; [unrolled: 1-line block ×4, first 2 shown]
	v_add_f64 v[76:77], v[80:81], v[84:85]
	v_add_f64 v[110:111], v[86:87], v[90:91]
	;; [unrolled: 1-line block ×3, first 2 shown]
	s_waitcnt lgkmcnt(7)
	v_add_f64 v[106:107], v[2:3], v[80:81]
	v_add_f64 v[108:109], v[0:1], v[78:79]
	s_waitcnt lgkmcnt(6)
	v_add_f64 v[121:122], v[6:7], v[88:89]
	v_add_f64 v[123:124], v[4:5], v[86:87]
	v_add_f64 v[80:81], v[80:81], -v[84:85]
	v_add_f64 v[78:79], v[78:79], -v[82:83]
	;; [unrolled: 1-line block ×4, first 2 shown]
	v_add_f64 v[125:126], v[94:95], v[98:99]
	v_add_f64 v[127:128], v[96:97], v[100:101]
	s_waitcnt lgkmcnt(5)
	v_add_f64 v[129:130], v[10:11], v[96:97]
	v_add_f64 v[131:132], v[8:9], v[94:95]
	s_waitcnt lgkmcnt(4)
	v_add_f64 v[143:144], v[18:19], v[102:103]
	v_add_f64 v[133:134], v[102:103], v[104:105]
	;; [unrolled: 1-line block ×3, first 2 shown]
	s_waitcnt lgkmcnt(3)
	v_add_f64 v[157:158], v[22:23], v[40:41]
	v_add_f64 v[153:154], v[24:25], v[44:45]
	;; [unrolled: 1-line block ×4, first 2 shown]
	v_add_f64 v[161:162], v[44:45], -v[48:49]
	s_waitcnt lgkmcnt(2)
	v_add_f64 v[165:166], v[28:29], v[52:53]
	v_add_f64 v[145:146], v[50:51], v[54:55]
	;; [unrolled: 1-line block ×3, first 2 shown]
	v_add_f64 v[177:178], v[52:53], -v[56:57]
	v_add_f64 v[167:168], v[26:27], v[50:51]
	v_add_f64 v[151:152], v[58:59], v[62:63]
	;; [unrolled: 1-line block ×3, first 2 shown]
	v_add_f64 v[96:97], v[96:97], -v[100:101]
	v_add_f64 v[94:95], v[94:95], -v[98:99]
	v_add_f64 v[139:140], v[20:21], v[38:39]
	s_waitcnt lgkmcnt(1)
	v_add_f64 v[169:170], v[32:33], v[60:61]
	v_add_f64 v[159:160], v[66:67], v[70:71]
	;; [unrolled: 1-line block ×3, first 2 shown]
	v_fma_f64 v[74:75], v[74:75], -0.5, v[0:1]
	v_add_f64 v[171:172], v[30:31], v[58:59]
	v_fma_f64 v[52:53], v[76:77], -0.5, v[2:3]
	v_fma_f64 v[4:5], v[110:111], -0.5, v[4:5]
	;; [unrolled: 1-line block ×3, first 2 shown]
	v_add_f64 v[147:148], v[38:39], -v[42:43]
	v_add_f64 v[102:103], v[102:103], -v[104:105]
	;; [unrolled: 1-line block ×3, first 2 shown]
	s_waitcnt lgkmcnt(0)
	v_add_f64 v[173:174], v[36:37], v[68:69]
	v_add_f64 v[175:176], v[34:35], v[66:67]
	;; [unrolled: 1-line block ×4, first 2 shown]
	v_add_f64 v[179:180], v[50:51], -v[54:55]
	v_fma_f64 v[8:9], v[125:126], -0.5, v[8:9]
	v_fma_f64 v[10:11], v[127:128], -0.5, v[10:11]
	v_add_f64 v[110:111], v[60:61], -v[64:65]
	v_add_f64 v[119:120], v[58:59], -v[62:63]
	;; [unrolled: 1-line block ×3, first 2 shown]
	v_fma_f64 v[76:77], v[133:134], -0.5, v[18:19]
	v_fma_f64 v[84:85], v[135:136], -0.5, v[20:21]
	v_add_f64 v[20:21], v[121:122], v[92:93]
	v_add_f64 v[18:19], v[123:124], v[90:91]
	v_fma_f64 v[82:83], v[137:138], -0.5, v[22:23]
	v_fma_f64 v[92:93], v[141:142], -0.5, v[24:25]
	v_add_f64 v[24:25], v[129:130], v[100:101]
	v_add_f64 v[22:23], v[131:132], v[98:99]
	v_fma_f64 v[90:91], v[145:146], -0.5, v[26:27]
	v_fma_f64 v[100:101], v[149:150], -0.5, v[28:29]
	v_add_f64 v[127:128], v[66:67], -v[70:71]
	v_add_f64 v[26:27], v[143:144], v[104:105]
	v_fma_f64 v[98:99], v[151:152], -0.5, v[30:31]
	v_fma_f64 v[106:107], v[155:156], -0.5, v[32:33]
	v_add_f64 v[32:33], v[153:154], v[48:49]
	v_add_f64 v[30:31], v[157:158], v[46:47]
	;; [unrolled: 1-line block ×3, first 2 shown]
	v_fma_f64 v[104:105], v[159:160], -0.5, v[34:35]
	v_fma_f64 v[108:109], v[44:45], -0.5, v[36:37]
	v_fma_f64 v[46:47], v[80:81], s[2:3], v[74:75]
	v_fma_f64 v[50:51], v[80:81], s[6:7], v[74:75]
	;; [unrolled: 1-line block ×4, first 2 shown]
	v_add_f64 v[36:37], v[165:166], v[56:57]
	v_add_f64 v[34:35], v[167:168], v[54:55]
	v_fma_f64 v[54:55], v[88:89], s[2:3], v[4:5]
	v_fma_f64 v[56:57], v[86:87], s[6:7], v[6:7]
	;; [unrolled: 1-line block ×4, first 2 shown]
	v_add_f64 v[44:45], v[169:170], v[64:65]
	v_add_f64 v[42:43], v[171:172], v[62:63]
	;; [unrolled: 1-line block ×3, first 2 shown]
	v_fma_f64 v[62:63], v[96:97], s[2:3], v[8:9]
	v_fma_f64 v[64:65], v[94:95], s[6:7], v[10:11]
	;; [unrolled: 1-line block ×4, first 2 shown]
	v_add_f64 v[0:1], v[175:176], v[70:71]
	v_fma_f64 v[70:71], v[147:148], s[2:3], v[76:77]
	v_fma_f64 v[72:73], v[102:103], s[6:7], v[84:85]
	;; [unrolled: 1-line block ×16, first 2 shown]
	s_barrier
	buffer_gl0_inv
	v_fma_f64 v[4:5], v[125:126], s[2:3], v[104:105]
	v_fma_f64 v[6:7], v[127:128], s[6:7], v[108:109]
	;; [unrolled: 1-line block ×4, first 2 shown]
	ds_store_b128 v118, v[38:41]
	ds_store_b128 v118, v[46:49] offset:1152
	ds_store_b128 v118, v[50:53] offset:2304
	ds_store_b128 v116, v[18:21]
	ds_store_b128 v116, v[54:57] offset:1152
	ds_store_b128 v116, v[58:61] offset:2304
	;; [unrolled: 3-line block ×7, first 2 shown]
	ds_store_b128 v12, v[0:3] offset:20736
	ds_store_b128 v12, v[4:7] offset:21888
	;; [unrolled: 1-line block ×3, first 2 shown]
	s_waitcnt lgkmcnt(0)
	s_barrier
	buffer_gl0_inv
	ds_load_b128 v[36:39], v118
	ds_load_b128 v[32:35], v118 offset:1008
	ds_load_b128 v[100:103], v118 offset:6912
	;; [unrolled: 1-line block ×20, first 2 shown]
                                        ; implicit-def: $vgpr26_vgpr27
                                        ; implicit-def: $vgpr22_vgpr23
                                        ; implicit-def: $vgpr18_vgpr19
                                        ; implicit-def: $vgpr14_vgpr15
	s_and_saveexec_b32 s1, s0
	s_cbranch_execz .LBB0_19
; %bb.18:
	ds_load_b128 v[0:3], v118 offset:3024
	ds_load_b128 v[4:7], v118 offset:6480
	;; [unrolled: 1-line block ×7, first 2 shown]
.LBB0_19:
	s_or_b32 exec_lo, exec_lo, s1
	v_mul_u32_u24_e32 v116, 6, v112
	s_mov_b32 s10, 0x37e14327
	s_mov_b32 s2, 0x36b3c0b5
	;; [unrolled: 1-line block ×4, first 2 shown]
	v_lshlrev_b32_e32 v116, 4, v116
	s_mov_b32 s3, 0x3fac98ee
	s_mov_b32 s15, 0x3fe11646
	s_mov_b32 s6, 0x429ad128
	s_mov_b32 s7, 0xbfebfeb5
	s_clause 0x3
	global_load_b128 v[119:122], v116, s[4:5] offset:3424
	global_load_b128 v[123:126], v116, s[4:5] offset:3440
	;; [unrolled: 1-line block ×4, first 2 shown]
	v_add_co_u32 v155, s1, s4, v116
	s_delay_alu instid0(VALU_DEP_1) | instskip(SKIP_1) | instid1(VALU_DEP_2)
	v_add_co_ci_u32_e64 v156, null, s5, 0, s1
	s_mov_b32 s12, 0xaaaaaaaa
	v_add_co_u32 v179, s1, 0x17a0, v155
	s_delay_alu instid0(VALU_DEP_1)
	v_add_co_ci_u32_e64 v180, s1, 0, v156, s1
	v_add_co_u32 v187, s1, 0x2f40, v155
	s_clause 0x4
	global_load_b128 v[135:138], v[179:180], off offset:3424
	global_load_b128 v[139:142], v116, s[4:5] offset:3456
	global_load_b128 v[143:146], v116, s[4:5] offset:3472
	global_load_b128 v[147:150], v[179:180], off offset:3440
	global_load_b128 v[151:154], v[179:180], off offset:3504
	v_add_co_ci_u32_e64 v188, s1, 0, v156, s1
	s_clause 0x8
	global_load_b128 v[155:158], v[179:180], off offset:3488
	global_load_b128 v[159:162], v[187:188], off offset:3424
	;; [unrolled: 1-line block ×9, first 2 shown]
	s_mov_b32 s16, 0x5476071b
	s_mov_b32 s20, 0xb247c609
	;; [unrolled: 1-line block ×11, first 2 shown]
	s_waitcnt vmcnt(0) lgkmcnt(0)
	s_barrier
	buffer_gl0_inv
	v_mul_f64 v[191:192], v[110:111], v[121:122]
	v_mul_f64 v[121:122], v[108:109], v[121:122]
	;; [unrolled: 1-line block ×14, first 2 shown]
	v_fma_f64 v[108:109], v[108:109], v[119:120], v[191:192]
	v_fma_f64 v[110:111], v[110:111], v[119:120], -v[121:122]
	v_mul_f64 v[119:120], v[86:87], v[149:150]
	v_mul_f64 v[121:122], v[84:85], v[149:150]
	v_mul_f64 v[149:150], v[74:75], v[153:154]
	v_mul_f64 v[153:154], v[72:73], v[153:154]
	v_fma_f64 v[100:101], v[100:101], v[123:124], v[193:194]
	v_fma_f64 v[102:103], v[102:103], v[123:124], -v[125:126]
	v_mul_f64 v[123:124], v[90:91], v[157:158]
	v_mul_f64 v[125:126], v[88:89], v[157:158]
	v_mul_f64 v[157:158], v[62:63], v[161:162]
	v_mul_f64 v[161:162], v[60:61], v[161:162]
	;; [unrolled: 6-line block ×3, first 2 shown]
	v_fma_f64 v[96:97], v[96:97], v[131:132], v[197:198]
	v_fma_f64 v[98:99], v[98:99], v[131:132], -v[133:134]
	v_mul_f64 v[131:132], v[76:77], v[173:174]
	v_mul_f64 v[133:134], v[68:69], v[169:170]
	;; [unrolled: 1-line block ×3, first 2 shown]
	v_fma_f64 v[92:93], v[92:93], v[135:136], v[199:200]
	v_fma_f64 v[94:95], v[94:95], v[135:136], -v[137:138]
	v_mul_f64 v[135:136], v[50:51], v[181:182]
	v_mul_f64 v[173:174], v[52:53], v[177:178]
	;; [unrolled: 1-line block ×5, first 2 shown]
	v_fma_f64 v[80:81], v[80:81], v[139:140], v[201:202]
	v_fma_f64 v[82:83], v[82:83], v[139:140], -v[141:142]
	v_fma_f64 v[56:57], v[56:57], v[143:144], v[203:204]
	v_fma_f64 v[58:59], v[58:59], v[143:144], -v[145:146]
	;; [unrolled: 2-line block ×3, first 2 shown]
	v_mul_f64 v[119:120], v[46:47], v[189:190]
	v_mul_f64 v[121:122], v[44:45], v[189:190]
	v_fma_f64 v[72:73], v[72:73], v[151:152], v[149:150]
	v_fma_f64 v[74:75], v[74:75], v[151:152], -v[153:154]
	v_fma_f64 v[88:89], v[88:89], v[155:156], v[123:124]
	v_fma_f64 v[90:91], v[90:91], v[155:156], -v[125:126]
	;; [unrolled: 2-line block ×4, first 2 shown]
	v_fma_f64 v[68:69], v[68:69], v[167:168], v[165:166]
	v_fma_f64 v[76:77], v[76:77], v[171:172], v[191:192]
	v_add_f64 v[123:124], v[108:109], v[96:97]
	v_add_f64 v[125:126], v[110:111], v[98:99]
	v_fma_f64 v[78:79], v[78:79], v[171:172], -v[131:132]
	v_fma_f64 v[70:71], v[70:71], v[167:168], -v[133:134]
	v_fma_f64 v[52:53], v[52:53], v[175:176], v[169:170]
	v_add_f64 v[127:128], v[100:101], v[104:105]
	v_add_f64 v[129:130], v[102:103], v[106:107]
	v_fma_f64 v[48:49], v[48:49], v[179:180], v[135:136]
	v_fma_f64 v[54:55], v[54:55], v[175:176], -v[173:174]
	v_fma_f64 v[50:51], v[50:51], v[179:180], -v[137:138]
	v_fma_f64 v[40:41], v[40:41], v[183:184], v[177:178]
	v_fma_f64 v[42:43], v[42:43], v[183:184], -v[181:182]
	v_add_f64 v[100:101], v[100:101], -v[104:105]
	v_add_f64 v[102:103], v[102:103], -v[106:107]
	v_add_f64 v[104:105], v[80:81], v[56:57]
	v_add_f64 v[135:136], v[82:83], v[58:59]
	v_add_f64 v[56:57], v[56:57], -v[80:81]
	v_add_f64 v[58:59], v[58:59], -v[82:83]
	;; [unrolled: 1-line block ×4, first 2 shown]
	v_fma_f64 v[44:45], v[44:45], v[187:188], v[119:120]
	v_fma_f64 v[46:47], v[46:47], v[187:188], -v[121:122]
	v_add_f64 v[119:120], v[92:93], v[72:73]
	v_add_f64 v[121:122], v[94:95], v[74:75]
	;; [unrolled: 1-line block ×4, first 2 shown]
	v_add_f64 v[84:85], v[84:85], -v[88:89]
	v_add_f64 v[86:87], v[86:87], -v[90:91]
	v_add_f64 v[106:107], v[64:65], v[68:69]
	v_add_f64 v[80:81], v[60:61], v[76:77]
	v_add_f64 v[64:65], v[64:65], -v[68:69]
	v_add_f64 v[60:61], v[60:61], -v[76:77]
	v_add_f64 v[82:83], v[62:63], v[78:79]
	v_add_f64 v[137:138], v[66:67], v[70:71]
	;; [unrolled: 4-line block ×3, first 2 shown]
	v_add_f64 v[48:49], v[48:49], -v[52:53]
	v_add_f64 v[52:53], v[127:128], v[123:124]
	v_add_f64 v[110:111], v[54:55], v[50:51]
	v_add_f64 v[50:51], v[50:51], -v[54:55]
	v_add_f64 v[54:55], v[92:93], -v[72:73]
	;; [unrolled: 1-line block ×9, first 2 shown]
	v_add_f64 v[125:126], v[58:59], v[102:103]
	v_add_f64 v[102:103], v[102:103], -v[98:99]
	v_add_f64 v[58:59], v[98:99], -v[58:59]
	v_add_f64 v[68:69], v[40:41], v[44:45]
	v_add_f64 v[40:41], v[44:45], -v[40:41]
	v_add_f64 v[70:71], v[42:43], v[46:47]
	;; [unrolled: 2-line block ×3, first 2 shown]
	v_add_f64 v[74:75], v[133:134], v[121:122]
	v_add_f64 v[46:47], v[127:128], -v[123:124]
	v_add_f64 v[127:128], v[56:57], -v[100:101]
	v_add_f64 v[123:124], v[56:57], v[100:101]
	v_add_f64 v[100:101], v[100:101], -v[96:97]
	v_add_f64 v[143:144], v[131:132], -v[119:120]
	;; [unrolled: 1-line block ×4, first 2 shown]
	v_add_f64 v[129:130], v[106:107], v[80:81]
	v_add_f64 v[151:152], v[106:107], -v[80:81]
	v_add_f64 v[139:140], v[137:138], v[82:83]
	v_add_f64 v[153:154], v[137:138], -v[82:83]
	;; [unrolled: 2-line block ×3, first 2 shown]
	v_add_f64 v[147:148], v[48:49], v[84:85]
	v_add_f64 v[52:53], v[104:105], v[52:53]
	v_add_f64 v[121:122], v[121:122], -v[110:111]
	v_add_f64 v[104:105], v[50:51], v[86:87]
	v_add_f64 v[135:136], v[48:49], -v[84:85]
	v_add_f64 v[149:150], v[50:51], -v[86:87]
	;; [unrolled: 1-line block ×6, first 2 shown]
	v_mul_f64 v[78:79], v[78:79], s[10:11]
	v_mul_f64 v[90:91], v[90:91], s[10:11]
	v_mul_f64 v[141:142], v[141:142], s[14:15]
	v_add_f64 v[98:99], v[125:126], v[98:99]
	v_mul_f64 v[125:126], v[102:103], s[6:7]
	v_add_f64 v[48:49], v[54:55], -v[48:49]
	v_add_f64 v[80:81], v[80:81], -v[68:69]
	v_add_f64 v[155:156], v[40:41], v[64:65]
	v_add_f64 v[82:83], v[82:83], -v[70:71]
	v_add_f64 v[106:107], v[68:69], -v[106:107]
	v_add_f64 v[44:45], v[108:109], v[44:45]
	v_add_f64 v[74:75], v[110:111], v[74:75]
	v_add_f64 v[110:111], v[40:41], -v[64:65]
	v_add_f64 v[157:158], v[42:43], -v[66:67]
	;; [unrolled: 1-line block ×3, first 2 shown]
	v_add_f64 v[108:109], v[42:43], v[66:67]
	v_add_f64 v[64:65], v[64:65], -v[60:61]
	v_add_f64 v[66:67], v[66:67], -v[62:63]
	v_mul_f64 v[127:128], v[127:128], s[14:15]
	v_add_f64 v[68:69], v[68:69], v[129:130]
	v_mul_f64 v[129:130], v[92:93], s[2:3]
	v_add_f64 v[96:97], v[123:124], v[96:97]
	;; [unrolled: 2-line block ×3, first 2 shown]
	v_mul_f64 v[139:140], v[94:95], s[2:3]
	v_add_f64 v[50:51], v[72:73], -v[50:51]
	v_add_f64 v[38:39], v[38:39], v[88:89]
	v_mul_f64 v[119:120], v[119:120], s[10:11]
	v_add_f64 v[54:55], v[147:148], v[54:55]
	v_add_f64 v[36:37], v[36:37], v[52:53]
	v_mul_f64 v[121:122], v[121:122], s[10:11]
	v_add_f64 v[72:73], v[104:105], v[72:73]
	v_mul_f64 v[135:136], v[135:136], s[14:15]
	v_mul_f64 v[147:148], v[149:150], s[14:15]
	;; [unrolled: 1-line block ×6, first 2 shown]
	v_add_f64 v[40:41], v[60:61], -v[40:41]
	v_add_f64 v[42:43], v[62:63], -v[42:43]
	v_fma_f64 v[92:93], v[92:93], s[2:3], v[78:79]
	v_fma_f64 v[94:95], v[94:95], s[2:3], v[90:91]
	v_fma_f64 v[102:103], v[102:103], s[6:7], -v[141:142]
	v_mul_f64 v[80:81], v[80:81], s[10:11]
	v_add_f64 v[60:61], v[155:156], v[60:61]
	v_mul_f64 v[82:83], v[82:83], s[10:11]
	v_add_f64 v[32:33], v[32:33], v[44:45]
	v_add_f64 v[34:35], v[34:35], v[74:75]
	v_mul_f64 v[110:111], v[110:111], s[14:15]
	v_mul_f64 v[155:156], v[157:158], s[14:15]
	;; [unrolled: 1-line block ×3, first 2 shown]
	v_add_f64 v[62:63], v[108:109], v[62:63]
	v_mul_f64 v[163:164], v[64:65], s[6:7]
	v_mul_f64 v[165:166], v[66:67], s[6:7]
	;; [unrolled: 1-line block ×3, first 2 shown]
	v_add_f64 v[28:29], v[28:29], v[68:69]
	v_fma_f64 v[129:130], v[46:47], s[16:17], -v[129:130]
	v_fma_f64 v[46:47], v[46:47], s[18:19], -v[78:79]
	v_fma_f64 v[78:79], v[56:57], s[20:21], v[127:128]
	v_add_f64 v[30:31], v[30:31], v[70:71]
	v_fma_f64 v[139:140], v[76:77], s[16:17], -v[139:140]
	v_fma_f64 v[76:77], v[76:77], s[18:19], -v[90:91]
	v_fma_f64 v[90:91], v[58:59], s[20:21], v[141:142]
	v_fma_f64 v[88:89], v[88:89], s[12:13], v[38:39]
	v_fma_f64 v[100:101], v[100:101], s[6:7], -v[127:128]
	v_fma_f64 v[52:53], v[52:53], s[12:13], v[36:37]
	v_fma_f64 v[56:57], v[56:57], s[22:23], -v[123:124]
	v_fma_f64 v[58:59], v[58:59], s[22:23], -v[125:126]
	v_fma_f64 v[123:124], v[131:132], s[2:3], v[119:120]
	v_fma_f64 v[125:126], v[133:134], s[2:3], v[121:122]
	v_fma_f64 v[119:120], v[143:144], s[18:19], -v[119:120]
	v_fma_f64 v[133:134], v[48:49], s[20:21], v[135:136]
	v_fma_f64 v[141:142], v[50:51], s[20:21], v[147:148]
	v_fma_f64 v[48:49], v[48:49], s[22:23], -v[104:105]
	v_fma_f64 v[50:51], v[50:51], s[22:23], -v[149:150]
	;; [unrolled: 1-line block ×7, first 2 shown]
	v_fma_f64 v[106:107], v[106:107], s[2:3], v[80:81]
	v_fma_f64 v[80:81], v[151:152], s[18:19], -v[80:81]
	v_fma_f64 v[121:122], v[137:138], s[2:3], v[82:83]
	v_fma_f64 v[82:83], v[153:154], s[18:19], -v[82:83]
	v_fma_f64 v[44:45], v[44:45], s[12:13], v[32:33]
	v_fma_f64 v[74:75], v[74:75], s[12:13], v[34:35]
	;; [unrolled: 1-line block ×4, first 2 shown]
	v_fma_f64 v[64:65], v[64:65], s[6:7], -v[110:111]
	v_fma_f64 v[66:67], v[66:67], s[6:7], -v[155:156]
	;; [unrolled: 1-line block ×5, first 2 shown]
	v_fma_f64 v[68:69], v[68:69], s[12:13], v[28:29]
	v_fma_f64 v[110:111], v[153:154], s[16:17], -v[157:158]
	v_fma_f64 v[102:103], v[98:99], s[24:25], v[102:103]
	v_fma_f64 v[78:79], v[96:97], s[24:25], v[78:79]
	;; [unrolled: 1-line block ×4, first 2 shown]
	v_add_f64 v[94:95], v[94:95], v[88:89]
	v_fma_f64 v[100:101], v[96:97], s[24:25], v[100:101]
	v_add_f64 v[92:93], v[92:93], v[52:53]
	v_fma_f64 v[96:97], v[96:97], s[24:25], v[56:57]
	v_fma_f64 v[56:57], v[98:99], s[24:25], v[58:59]
	v_add_f64 v[58:59], v[46:47], v[52:53]
	v_add_f64 v[76:77], v[76:77], v[88:89]
	;; [unrolled: 1-line block ×3, first 2 shown]
	v_fma_f64 v[98:99], v[54:55], s[24:25], v[133:134]
	v_add_f64 v[52:53], v[129:130], v[52:53]
	v_fma_f64 v[133:134], v[54:55], s[24:25], v[48:49]
	v_fma_f64 v[139:140], v[72:73], s[24:25], v[50:51]
	;; [unrolled: 1-line block ×5, first 2 shown]
	v_add_f64 v[119:120], v[119:120], v[44:45]
	v_add_f64 v[104:105], v[104:105], v[74:75]
	;; [unrolled: 1-line block ×6, first 2 shown]
	v_fma_f64 v[135:136], v[60:61], s[24:25], v[135:136]
	v_fma_f64 v[137:138], v[62:63], s[24:25], v[137:138]
	;; [unrolled: 1-line block ×3, first 2 shown]
	v_add_f64 v[149:150], v[106:107], v[68:69]
	v_fma_f64 v[147:148], v[62:63], s[24:25], v[42:43]
	v_add_f64 v[106:107], v[80:81], v[68:69]
	v_fma_f64 v[141:142], v[60:61], s[24:25], v[64:65]
	v_add_f64 v[121:122], v[121:122], v[70:71]
	v_add_f64 v[151:152], v[82:83], v[70:71]
	v_fma_f64 v[143:144], v[62:63], s[24:25], v[66:67]
	v_add_f64 v[108:109], v[108:109], v[68:69]
	v_add_f64 v[110:111], v[110:111], v[70:71]
	v_add_f64 v[42:43], v[94:95], -v[78:79]
	v_add_f64 v[40:41], v[90:91], v[92:93]
	v_add_f64 v[62:63], v[78:79], v[94:95]
	v_add_f64 v[60:61], v[92:93], -v[90:91]
	v_add_f64 v[44:45], v[56:57], v[58:59]
	v_add_f64 v[46:47], v[76:77], -v[96:97]
	v_add_f64 v[54:55], v[88:89], -v[100:101]
	;; [unrolled: 1-line block ×4, first 2 shown]
	v_add_f64 v[52:53], v[102:103], v[52:53]
	v_add_f64 v[58:59], v[96:97], v[76:77]
	v_add_f64 v[50:51], v[100:101], v[88:89]
	v_add_f64 v[68:69], v[139:140], v[119:120]
	v_add_f64 v[70:71], v[104:105], -v[133:134]
	v_add_f64 v[76:77], v[86:87], v[127:128]
	v_add_f64 v[78:79], v[131:132], -v[84:85]
	v_add_f64 v[72:73], v[127:128], -v[86:87]
	v_add_f64 v[74:75], v[84:85], v[131:132]
	v_add_f64 v[84:85], v[123:124], -v[129:130]
	v_add_f64 v[86:87], v[98:99], v[125:126]
	v_add_f64 v[64:65], v[129:130], v[123:124]
	v_add_f64 v[66:67], v[125:126], -v[98:99]
	v_add_f64 v[88:89], v[137:138], v[149:150]
	v_add_f64 v[92:93], v[147:148], v[106:107]
	v_add_f64 v[80:81], v[119:120], -v[139:140]
	v_add_f64 v[90:91], v[121:122], -v[135:136]
	;; [unrolled: 1-line block ×3, first 2 shown]
	v_add_f64 v[82:83], v[133:134], v[104:105]
	v_add_f64 v[96:97], v[108:109], -v[143:144]
	v_add_f64 v[98:99], v[141:142], v[110:111]
	v_add_f64 v[100:101], v[143:144], v[108:109]
	v_add_f64 v[102:103], v[110:111], -v[141:142]
	v_add_f64 v[104:105], v[106:107], -v[147:148]
	v_add_f64 v[106:107], v[145:146], v[151:152]
	v_add_f64 v[108:109], v[149:150], -v[137:138]
	v_add_f64 v[110:111], v[135:136], v[121:122]
	ds_store_b128 v118, v[36:39]
	ds_store_b128 v118, v[32:35] offset:1008
	ds_store_b128 v118, v[28:31] offset:2016
	;; [unrolled: 1-line block ×20, first 2 shown]
	s_and_saveexec_b32 s1, s0
	s_cbranch_execz .LBB0_21
; %bb.20:
	v_subrev_nc_u32_e32 v28, 27, v112
	s_delay_alu instid0(VALU_DEP_1) | instskip(NEXT) | instid1(VALU_DEP_1)
	v_cndmask_b32_e64 v28, v28, v113, s0
	v_mul_i32_i24_e32 v116, 6, v28
	s_delay_alu instid0(VALU_DEP_1) | instskip(NEXT) | instid1(VALU_DEP_1)
	v_lshlrev_b64 v[28:29], 4, v[116:117]
	v_add_co_u32 v48, s0, s4, v28
	s_delay_alu instid0(VALU_DEP_1)
	v_add_co_ci_u32_e64 v49, s0, s5, v29, s0
	s_clause 0x5
	global_load_b128 v[28:31], v[48:49], off offset:3504
	global_load_b128 v[32:35], v[48:49], off offset:3424
	global_load_b128 v[36:39], v[48:49], off offset:3488
	global_load_b128 v[40:43], v[48:49], off offset:3440
	global_load_b128 v[44:47], v[48:49], off offset:3472
	global_load_b128 v[48:51], v[48:49], off offset:3456
	s_waitcnt vmcnt(5)
	v_mul_f64 v[52:53], v[24:25], v[30:31]
	s_waitcnt vmcnt(4)
	v_mul_f64 v[54:55], v[4:5], v[34:35]
	;; [unrolled: 2-line block ×4, first 2 shown]
	v_mul_f64 v[34:35], v[6:7], v[34:35]
	v_mul_f64 v[30:31], v[26:27], v[30:31]
	;; [unrolled: 1-line block ×4, first 2 shown]
	s_waitcnt vmcnt(1)
	v_mul_f64 v[60:61], v[18:19], v[46:47]
	s_waitcnt vmcnt(0)
	v_mul_f64 v[62:63], v[14:15], v[50:51]
	v_mul_f64 v[50:51], v[12:13], v[50:51]
	;; [unrolled: 1-line block ×3, first 2 shown]
	v_fma_f64 v[26:27], v[26:27], v[28:29], -v[52:53]
	v_fma_f64 v[6:7], v[6:7], v[32:33], -v[54:55]
	;; [unrolled: 1-line block ×4, first 2 shown]
	v_fma_f64 v[4:5], v[4:5], v[32:33], v[34:35]
	v_fma_f64 v[24:25], v[24:25], v[28:29], v[30:31]
	;; [unrolled: 1-line block ×6, first 2 shown]
	v_fma_f64 v[14:15], v[14:15], v[48:49], -v[50:51]
	v_fma_f64 v[18:19], v[18:19], v[44:45], -v[46:47]
	v_add_f64 v[28:29], v[6:7], v[26:27]
	v_add_f64 v[6:7], v[6:7], -v[26:27]
	v_add_f64 v[30:31], v[10:11], v[22:23]
	v_add_f64 v[10:11], v[10:11], -v[22:23]
	;; [unrolled: 2-line block ×4, first 2 shown]
	v_add_f64 v[36:37], v[16:17], -v[12:13]
	v_add_f64 v[12:13], v[12:13], v[16:17]
	v_add_f64 v[20:21], v[14:15], v[18:19]
	v_add_f64 v[14:15], v[18:19], -v[14:15]
	v_add_f64 v[16:17], v[30:31], v[28:29]
	v_add_f64 v[42:43], v[10:11], -v[6:7]
	;; [unrolled: 2-line block ×3, first 2 shown]
	v_add_f64 v[22:23], v[36:37], -v[8:9]
	v_add_f64 v[26:27], v[32:33], -v[12:13]
	;; [unrolled: 1-line block ×5, first 2 shown]
	v_add_f64 v[8:9], v[36:37], v[8:9]
	v_add_f64 v[10:11], v[14:15], v[10:11]
	v_add_f64 v[14:15], v[6:7], -v[14:15]
	v_add_f64 v[28:29], v[30:31], -v[28:29]
	;; [unrolled: 1-line block ×3, first 2 shown]
	v_add_f64 v[16:17], v[20:21], v[16:17]
	v_add_f64 v[20:21], v[20:21], -v[30:31]
	v_mul_f64 v[46:47], v[42:43], s[6:7]
	v_add_f64 v[18:19], v[12:13], v[18:19]
	v_add_f64 v[12:13], v[12:13], -v[34:35]
	v_mul_f64 v[22:23], v[22:23], s[14:15]
	v_mul_f64 v[26:27], v[26:27], s[10:11]
	;; [unrolled: 1-line block ×5, first 2 shown]
	v_add_f64 v[4:5], v[8:9], v[4:5]
	v_add_f64 v[6:7], v[10:11], v[6:7]
	;; [unrolled: 1-line block ×3, first 2 shown]
	v_mul_f64 v[30:31], v[20:21], s[2:3]
	v_add_f64 v[0:1], v[0:1], v[18:19]
	v_mul_f64 v[34:35], v[12:13], s[2:3]
	v_fma_f64 v[8:9], v[44:45], s[20:21], v[22:23]
	v_fma_f64 v[12:13], v[12:13], s[2:3], v[26:27]
	v_fma_f64 v[10:11], v[20:21], s[2:3], v[24:25]
	v_fma_f64 v[20:21], v[44:45], s[22:23], -v[36:37]
	v_fma_f64 v[22:23], v[38:39], s[6:7], -v[22:23]
	;; [unrolled: 1-line block ×5, first 2 shown]
	v_fma_f64 v[16:17], v[16:17], s[12:13], v[2:3]
	v_fma_f64 v[28:29], v[28:29], s[16:17], -v[30:31]
	v_fma_f64 v[30:31], v[14:15], s[20:21], v[40:41]
	v_fma_f64 v[14:15], v[14:15], s[22:23], -v[46:47]
	;; [unrolled: 2-line block ×3, first 2 shown]
	v_fma_f64 v[8:9], v[4:5], s[24:25], v[8:9]
	v_fma_f64 v[20:21], v[4:5], s[24:25], v[20:21]
	;; [unrolled: 1-line block ×4, first 2 shown]
	v_add_f64 v[34:35], v[10:11], v[16:17]
	v_add_f64 v[22:23], v[24:25], v[16:17]
	;; [unrolled: 1-line block ×3, first 2 shown]
	v_fma_f64 v[28:29], v[6:7], s[24:25], v[30:31]
	v_add_f64 v[38:39], v[12:13], v[18:19]
	v_fma_f64 v[30:31], v[6:7], s[24:25], v[14:15]
	v_add_f64 v[40:41], v[26:27], v[18:19]
	v_add_f64 v[12:13], v[32:33], v[18:19]
	v_add_f64 v[26:27], v[34:35], -v[8:9]
	v_add_f64 v[10:11], v[20:21], v[22:23]
	v_add_f64 v[22:23], v[22:23], -v[20:21]
	v_add_f64 v[14:15], v[16:17], -v[4:5]
	v_add_f64 v[24:25], v[28:29], v[38:39]
	v_add_f64 v[18:19], v[4:5], v[16:17]
	;; [unrolled: 1-line block ×3, first 2 shown]
	v_add_f64 v[16:17], v[12:13], -v[36:37]
	v_add_f64 v[12:13], v[36:37], v[12:13]
	v_add_f64 v[6:7], v[8:9], v[34:35]
	v_add_f64 v[8:9], v[40:41], -v[30:31]
	v_add_f64 v[4:5], v[38:39], -v[28:29]
	ds_store_b128 v118, v[0:3] offset:3024
	ds_store_b128 v118, v[24:27] offset:6480
	;; [unrolled: 1-line block ×7, first 2 shown]
.LBB0_21:
	s_or_b32 exec_lo, exec_lo, s1
	s_waitcnt lgkmcnt(0)
	s_barrier
	buffer_gl0_inv
	s_and_saveexec_b32 s0, vcc_lo
	s_cbranch_execz .LBB0_23
; %bb.22:
	v_lshl_add_u32 v34, v112, 4, 0
	v_dual_mov_b32 v113, 0 :: v_dual_add_nc_u32 v8, 63, v112
	v_add_co_u32 v36, vcc_lo, s8, v114
	ds_load_b128 v[0:3], v34
	ds_load_b128 v[4:7], v34 offset:1008
	v_dual_mov_b32 v9, v113 :: v_dual_add_nc_u32 v12, 0x7e, v112
	v_lshlrev_b64 v[10:11], 4, v[112:113]
	v_add_co_ci_u32_e32 v37, vcc_lo, s9, v115, vcc_lo
	s_delay_alu instid0(VALU_DEP_3) | instskip(SKIP_1) | instid1(VALU_DEP_4)
	v_lshlrev_b64 v[8:9], 4, v[8:9]
	v_dual_mov_b32 v13, v113 :: v_dual_add_nc_u32 v14, 0xbd, v112
	v_add_co_u32 v10, vcc_lo, v36, v10
	s_delay_alu instid0(VALU_DEP_4) | instskip(NEXT) | instid1(VALU_DEP_4)
	v_add_co_ci_u32_e32 v11, vcc_lo, v37, v11, vcc_lo
	v_add_co_u32 v8, vcc_lo, v36, v8
	v_add_co_ci_u32_e32 v9, vcc_lo, v37, v9, vcc_lo
	v_lshlrev_b64 v[12:13], 4, v[12:13]
	v_mov_b32_e32 v15, v113
	v_dual_mov_b32 v23, v113 :: v_dual_add_nc_u32 v24, 0x17a, v112
	s_waitcnt lgkmcnt(1)
	global_store_b128 v[10:11], v[0:3], off
	s_waitcnt lgkmcnt(0)
	global_store_b128 v[8:9], v[4:7], off
	v_dual_mov_b32 v9, v113 :: v_dual_add_nc_u32 v8, 0xfc, v112
	v_add_nc_u32_e32 v22, 0x13b, v112
	v_add_co_u32 v16, vcc_lo, v36, v12
	v_add_co_ci_u32_e32 v17, vcc_lo, v37, v13, vcc_lo
	ds_load_b128 v[0:3], v34 offset:2016
	ds_load_b128 v[4:7], v34 offset:3024
	v_lshlrev_b64 v[18:19], 4, v[14:15]
	v_lshlrev_b64 v[20:21], 4, v[8:9]
	ds_load_b128 v[8:11], v34 offset:4032
	ds_load_b128 v[12:15], v34 offset:5040
	v_lshlrev_b64 v[22:23], 4, v[22:23]
	v_mov_b32_e32 v25, v113
	v_add_co_u32 v18, vcc_lo, v36, v18
	v_add_co_ci_u32_e32 v19, vcc_lo, v37, v19, vcc_lo
	v_add_co_u32 v20, vcc_lo, v36, v20
	v_add_co_ci_u32_e32 v21, vcc_lo, v37, v21, vcc_lo
	;; [unrolled: 2-line block ×3, first 2 shown]
	s_waitcnt lgkmcnt(3)
	global_store_b128 v[16:17], v[0:3], off
	s_waitcnt lgkmcnt(2)
	global_store_b128 v[18:19], v[4:7], off
	;; [unrolled: 2-line block ×4, first 2 shown]
	v_add_nc_u32_e32 v8, 0x1b9, v112
	v_lshlrev_b64 v[0:1], 4, v[24:25]
	v_dual_mov_b32 v9, v113 :: v_dual_add_nc_u32 v10, 0x1f8, v112
	v_dual_mov_b32 v11, v113 :: v_dual_add_nc_u32 v22, 0x237, v112
	;; [unrolled: 1-line block ×3, first 2 shown]
	s_delay_alu instid0(VALU_DEP_4)
	v_add_co_u32 v16, vcc_lo, v36, v0
	v_add_co_ci_u32_e32 v17, vcc_lo, v37, v1, vcc_lo
	ds_load_b128 v[0:3], v34 offset:6048
	ds_load_b128 v[4:7], v34 offset:7056
	v_lshlrev_b64 v[18:19], 4, v[8:9]
	v_lshlrev_b64 v[20:21], 4, v[10:11]
	ds_load_b128 v[8:11], v34 offset:8064
	ds_load_b128 v[12:15], v34 offset:9072
	v_lshlrev_b64 v[22:23], 4, v[22:23]
	v_add_co_u32 v18, vcc_lo, v36, v18
	v_add_co_ci_u32_e32 v19, vcc_lo, v37, v19, vcc_lo
	v_add_co_u32 v20, vcc_lo, v36, v20
	v_add_co_ci_u32_e32 v21, vcc_lo, v37, v21, vcc_lo
	;; [unrolled: 2-line block ×3, first 2 shown]
	s_waitcnt lgkmcnt(3)
	global_store_b128 v[16:17], v[0:3], off
	s_waitcnt lgkmcnt(2)
	global_store_b128 v[18:19], v[4:7], off
	;; [unrolled: 2-line block ×4, first 2 shown]
	v_lshlrev_b64 v[0:1], 4, v[24:25]
	v_dual_mov_b32 v9, v113 :: v_dual_add_nc_u32 v8, 0x2b5, v112
	v_dual_mov_b32 v11, v113 :: v_dual_add_nc_u32 v10, 0x2f4, v112
	;; [unrolled: 1-line block ×3, first 2 shown]
	s_delay_alu instid0(VALU_DEP_4)
	v_add_co_u32 v16, vcc_lo, v36, v0
	v_add_co_ci_u32_e32 v17, vcc_lo, v37, v1, vcc_lo
	ds_load_b128 v[0:3], v34 offset:10080
	ds_load_b128 v[4:7], v34 offset:11088
	v_lshlrev_b64 v[18:19], 4, v[8:9]
	v_lshlrev_b64 v[20:21], 4, v[10:11]
	ds_load_b128 v[8:11], v34 offset:12096
	ds_load_b128 v[12:15], v34 offset:13104
	v_lshlrev_b64 v[22:23], 4, v[22:23]
	v_add_nc_u32_e32 v24, 0x372, v112
	v_add_co_u32 v18, vcc_lo, v36, v18
	v_add_co_ci_u32_e32 v19, vcc_lo, v37, v19, vcc_lo
	v_add_co_u32 v20, vcc_lo, v36, v20
	v_add_co_ci_u32_e32 v21, vcc_lo, v37, v21, vcc_lo
	;; [unrolled: 2-line block ×3, first 2 shown]
	s_waitcnt lgkmcnt(3)
	global_store_b128 v[16:17], v[0:3], off
	s_waitcnt lgkmcnt(2)
	global_store_b128 v[18:19], v[4:7], off
	;; [unrolled: 2-line block ×4, first 2 shown]
	v_mov_b32_e32 v9, v113
	v_lshlrev_b64 v[0:1], 4, v[24:25]
	v_dual_mov_b32 v11, v113 :: v_dual_add_nc_u32 v8, 0x3b1, v112
	v_dual_mov_b32 v23, v113 :: v_dual_add_nc_u32 v10, 0x3f0, v112
	v_add_nc_u32_e32 v22, 0x42f, v112
	s_delay_alu instid0(VALU_DEP_4)
	v_add_co_u32 v16, vcc_lo, v36, v0
	v_add_co_ci_u32_e32 v17, vcc_lo, v37, v1, vcc_lo
	ds_load_b128 v[0:3], v34 offset:14112
	ds_load_b128 v[4:7], v34 offset:15120
	v_lshlrev_b64 v[18:19], 4, v[8:9]
	v_lshlrev_b64 v[20:21], 4, v[10:11]
	ds_load_b128 v[8:11], v34 offset:16128
	ds_load_b128 v[12:15], v34 offset:17136
	v_add_nc_u32_e32 v24, 0x46e, v112
	v_add_co_u32 v18, vcc_lo, v36, v18
	v_add_co_ci_u32_e32 v19, vcc_lo, v37, v19, vcc_lo
	s_waitcnt lgkmcnt(3)
	global_store_b128 v[16:17], v[0:3], off
	s_waitcnt lgkmcnt(2)
	global_store_b128 v[18:19], v[4:7], off
	v_mov_b32_e32 v3, v113
	v_lshlrev_b64 v[22:23], 4, v[22:23]
	v_add_co_u32 v20, vcc_lo, v36, v20
	v_add_co_ci_u32_e32 v21, vcc_lo, v37, v21, vcc_lo
	v_dual_mov_b32 v17, v113 :: v_dual_add_nc_u32 v2, 0x4ad, v112
	s_delay_alu instid0(VALU_DEP_4)
	v_add_co_u32 v22, vcc_lo, v36, v22
	v_add_co_ci_u32_e32 v23, vcc_lo, v37, v23, vcc_lo
	s_waitcnt lgkmcnt(1)
	global_store_b128 v[20:21], v[8:11], off
	s_waitcnt lgkmcnt(0)
	global_store_b128 v[22:23], v[12:15], off
	v_mov_b32_e32 v11, v113
	v_lshlrev_b64 v[0:1], 4, v[24:25]
	v_lshlrev_b64 v[8:9], 4, v[2:3]
	v_dual_mov_b32 v19, v113 :: v_dual_add_nc_u32 v10, 0x4ec, v112
	v_add_nc_u32_e32 v16, 0x52b, v112
	v_add_nc_u32_e32 v18, 0x56a, v112
	v_add_co_u32 v24, vcc_lo, v36, v0
	v_add_co_ci_u32_e32 v25, vcc_lo, v37, v1, vcc_lo
	v_add_co_u32 v26, vcc_lo, v36, v8
	v_add_co_ci_u32_e32 v27, vcc_lo, v37, v9, vcc_lo
	v_lshlrev_b64 v[8:9], 4, v[10:11]
	ds_load_b128 v[0:3], v34 offset:18144
	ds_load_b128 v[4:7], v34 offset:19152
	v_lshlrev_b64 v[30:31], 4, v[16:17]
	v_lshlrev_b64 v[32:33], 4, v[18:19]
	v_add_nc_u32_e32 v112, 0x5a9, v112
	v_add_co_u32 v28, vcc_lo, v36, v8
	v_add_co_ci_u32_e32 v29, vcc_lo, v37, v9, vcc_lo
	ds_load_b128 v[8:11], v34 offset:20160
	ds_load_b128 v[12:15], v34 offset:21168
	;; [unrolled: 1-line block ×4, first 2 shown]
	v_add_co_u32 v30, vcc_lo, v36, v30
	v_lshlrev_b64 v[34:35], 4, v[112:113]
	v_add_co_ci_u32_e32 v31, vcc_lo, v37, v31, vcc_lo
	v_add_co_u32 v32, vcc_lo, v36, v32
	v_add_co_ci_u32_e32 v33, vcc_lo, v37, v33, vcc_lo
	s_delay_alu instid0(VALU_DEP_4)
	v_add_co_u32 v34, vcc_lo, v36, v34
	v_add_co_ci_u32_e32 v35, vcc_lo, v37, v35, vcc_lo
	s_waitcnt lgkmcnt(5)
	global_store_b128 v[24:25], v[0:3], off
	s_waitcnt lgkmcnt(4)
	global_store_b128 v[26:27], v[4:7], off
	;; [unrolled: 2-line block ×6, first 2 shown]
.LBB0_23:
	s_nop 0
	s_sendmsg sendmsg(MSG_DEALLOC_VGPRS)
	s_endpgm
	.section	.rodata,"a",@progbits
	.p2align	6, 0x0
	.amdhsa_kernel fft_rtc_back_len1512_factors_2_2_2_3_3_3_7_wgs_63_tpt_63_halfLds_dp_ip_CI_unitstride_sbrr_C2R_dirReg
		.amdhsa_group_segment_fixed_size 0
		.amdhsa_private_segment_fixed_size 0
		.amdhsa_kernarg_size 88
		.amdhsa_user_sgpr_count 15
		.amdhsa_user_sgpr_dispatch_ptr 0
		.amdhsa_user_sgpr_queue_ptr 0
		.amdhsa_user_sgpr_kernarg_segment_ptr 1
		.amdhsa_user_sgpr_dispatch_id 0
		.amdhsa_user_sgpr_private_segment_size 0
		.amdhsa_wavefront_size32 1
		.amdhsa_uses_dynamic_stack 0
		.amdhsa_enable_private_segment 0
		.amdhsa_system_sgpr_workgroup_id_x 1
		.amdhsa_system_sgpr_workgroup_id_y 0
		.amdhsa_system_sgpr_workgroup_id_z 0
		.amdhsa_system_sgpr_workgroup_info 0
		.amdhsa_system_vgpr_workitem_id 0
		.amdhsa_next_free_vgpr 209
		.amdhsa_next_free_sgpr 26
		.amdhsa_reserve_vcc 1
		.amdhsa_float_round_mode_32 0
		.amdhsa_float_round_mode_16_64 0
		.amdhsa_float_denorm_mode_32 3
		.amdhsa_float_denorm_mode_16_64 3
		.amdhsa_dx10_clamp 1
		.amdhsa_ieee_mode 1
		.amdhsa_fp16_overflow 0
		.amdhsa_workgroup_processor_mode 1
		.amdhsa_memory_ordered 1
		.amdhsa_forward_progress 0
		.amdhsa_shared_vgpr_count 0
		.amdhsa_exception_fp_ieee_invalid_op 0
		.amdhsa_exception_fp_denorm_src 0
		.amdhsa_exception_fp_ieee_div_zero 0
		.amdhsa_exception_fp_ieee_overflow 0
		.amdhsa_exception_fp_ieee_underflow 0
		.amdhsa_exception_fp_ieee_inexact 0
		.amdhsa_exception_int_div_zero 0
	.end_amdhsa_kernel
	.text
.Lfunc_end0:
	.size	fft_rtc_back_len1512_factors_2_2_2_3_3_3_7_wgs_63_tpt_63_halfLds_dp_ip_CI_unitstride_sbrr_C2R_dirReg, .Lfunc_end0-fft_rtc_back_len1512_factors_2_2_2_3_3_3_7_wgs_63_tpt_63_halfLds_dp_ip_CI_unitstride_sbrr_C2R_dirReg
                                        ; -- End function
	.section	.AMDGPU.csdata,"",@progbits
; Kernel info:
; codeLenInByte = 21776
; NumSgprs: 28
; NumVgprs: 209
; ScratchSize: 0
; MemoryBound: 0
; FloatMode: 240
; IeeeMode: 1
; LDSByteSize: 0 bytes/workgroup (compile time only)
; SGPRBlocks: 3
; VGPRBlocks: 26
; NumSGPRsForWavesPerEU: 28
; NumVGPRsForWavesPerEU: 209
; Occupancy: 7
; WaveLimiterHint : 1
; COMPUTE_PGM_RSRC2:SCRATCH_EN: 0
; COMPUTE_PGM_RSRC2:USER_SGPR: 15
; COMPUTE_PGM_RSRC2:TRAP_HANDLER: 0
; COMPUTE_PGM_RSRC2:TGID_X_EN: 1
; COMPUTE_PGM_RSRC2:TGID_Y_EN: 0
; COMPUTE_PGM_RSRC2:TGID_Z_EN: 0
; COMPUTE_PGM_RSRC2:TIDIG_COMP_CNT: 0
	.text
	.p2alignl 7, 3214868480
	.fill 96, 4, 3214868480
	.type	__hip_cuid_8c057a825f5b3e20,@object ; @__hip_cuid_8c057a825f5b3e20
	.section	.bss,"aw",@nobits
	.globl	__hip_cuid_8c057a825f5b3e20
__hip_cuid_8c057a825f5b3e20:
	.byte	0                               ; 0x0
	.size	__hip_cuid_8c057a825f5b3e20, 1

	.ident	"AMD clang version 19.0.0git (https://github.com/RadeonOpenCompute/llvm-project roc-6.4.0 25133 c7fe45cf4b819c5991fe208aaa96edf142730f1d)"
	.section	".note.GNU-stack","",@progbits
	.addrsig
	.addrsig_sym __hip_cuid_8c057a825f5b3e20
	.amdgpu_metadata
---
amdhsa.kernels:
  - .args:
      - .actual_access:  read_only
        .address_space:  global
        .offset:         0
        .size:           8
        .value_kind:     global_buffer
      - .offset:         8
        .size:           8
        .value_kind:     by_value
      - .actual_access:  read_only
        .address_space:  global
        .offset:         16
        .size:           8
        .value_kind:     global_buffer
      - .actual_access:  read_only
        .address_space:  global
        .offset:         24
        .size:           8
        .value_kind:     global_buffer
      - .offset:         32
        .size:           8
        .value_kind:     by_value
      - .actual_access:  read_only
        .address_space:  global
        .offset:         40
        .size:           8
        .value_kind:     global_buffer
      - .actual_access:  read_only
        .address_space:  global
        .offset:         48
        .size:           8
        .value_kind:     global_buffer
      - .offset:         56
        .size:           4
        .value_kind:     by_value
      - .actual_access:  read_only
        .address_space:  global
        .offset:         64
        .size:           8
        .value_kind:     global_buffer
      - .actual_access:  read_only
        .address_space:  global
        .offset:         72
        .size:           8
        .value_kind:     global_buffer
      - .address_space:  global
        .offset:         80
        .size:           8
        .value_kind:     global_buffer
    .group_segment_fixed_size: 0
    .kernarg_segment_align: 8
    .kernarg_segment_size: 88
    .language:       OpenCL C
    .language_version:
      - 2
      - 0
    .max_flat_workgroup_size: 63
    .name:           fft_rtc_back_len1512_factors_2_2_2_3_3_3_7_wgs_63_tpt_63_halfLds_dp_ip_CI_unitstride_sbrr_C2R_dirReg
    .private_segment_fixed_size: 0
    .sgpr_count:     28
    .sgpr_spill_count: 0
    .symbol:         fft_rtc_back_len1512_factors_2_2_2_3_3_3_7_wgs_63_tpt_63_halfLds_dp_ip_CI_unitstride_sbrr_C2R_dirReg.kd
    .uniform_work_group_size: 1
    .uses_dynamic_stack: false
    .vgpr_count:     209
    .vgpr_spill_count: 0
    .wavefront_size: 32
    .workgroup_processor_mode: 1
amdhsa.target:   amdgcn-amd-amdhsa--gfx1100
amdhsa.version:
  - 1
  - 2
...

	.end_amdgpu_metadata
